;; amdgpu-corpus repo=ROCm/rocFFT kind=compiled arch=gfx1030 opt=O3
	.text
	.amdgcn_target "amdgcn-amd-amdhsa--gfx1030"
	.amdhsa_code_object_version 6
	.protected	bluestein_single_fwd_len1377_dim1_sp_op_CI_CI ; -- Begin function bluestein_single_fwd_len1377_dim1_sp_op_CI_CI
	.globl	bluestein_single_fwd_len1377_dim1_sp_op_CI_CI
	.p2align	8
	.type	bluestein_single_fwd_len1377_dim1_sp_op_CI_CI,@function
bluestein_single_fwd_len1377_dim1_sp_op_CI_CI: ; @bluestein_single_fwd_len1377_dim1_sp_op_CI_CI
; %bb.0:
	s_load_dwordx4 s[12:15], s[4:5], 0x28
	v_mul_u32_u24_e32 v1, 0x506, v0
	s_mov_b64 s[18:19], s[2:3]
	s_mov_b64 s[16:17], s[0:1]
	v_mov_b32_e32 v205, 0
	s_add_u32 s16, s16, s7
	v_lshrrev_b32_e32 v1, 16, v1
	s_addc_u32 s17, s17, 0
	s_mov_b32 s0, exec_lo
	v_add_nc_u32_e32 v204, s6, v1
	s_waitcnt lgkmcnt(0)
	v_cmpx_gt_u64_e64 s[12:13], v[204:205]
	s_cbranch_execz .LBB0_15
; %bb.1:
	s_clause 0x1
	s_load_dwordx4 s[8:11], s[4:5], 0x18
	s_load_dwordx2 s[6:7], s[4:5], 0x0
	v_mul_lo_u16 v1, v1, 51
	v_sub_nc_u16 v11, v0, v1
	v_and_b32_e32 v205, 0xffff, v11
	v_lshlrev_b32_e32 v223, 3, v205
	s_waitcnt lgkmcnt(0)
	s_load_dwordx4 s[0:3], s[8:9], 0x0
	s_clause 0x3
	global_load_dwordx2 v[216:217], v223, s[6:7]
	global_load_dwordx2 v[214:215], v223, s[6:7] offset:648
	global_load_dwordx2 v[206:207], v223, s[6:7] offset:1296
	;; [unrolled: 1-line block ×3, first 2 shown]
	v_add_co_u32 v190, s8, s6, v223
	v_add_co_ci_u32_e64 v191, null, s7, 0, s8
	v_add_nc_u32_e32 v8, 0x1800, v223
	v_add_co_u32 v188, vcc_lo, 0x800, v190
	v_add_co_ci_u32_e32 v189, vcc_lo, 0, v191, vcc_lo
	v_add_co_u32 v186, vcc_lo, 0x1000, v190
	v_add_co_ci_u32_e32 v187, vcc_lo, 0, v191, vcc_lo
	v_add_co_u32 v184, vcc_lo, 0x1800, v190
	v_add_co_ci_u32_e32 v185, vcc_lo, 0, v191, vcc_lo
	s_waitcnt lgkmcnt(0)
	v_mad_u64_u32 v[0:1], null, s2, v204, 0
	v_mad_u64_u32 v[2:3], null, s0, v205, 0
	v_add_co_u32 v178, vcc_lo, 0x2000, v190
	v_add_co_ci_u32_e32 v179, vcc_lo, 0, v191, vcc_lo
	v_add_co_u32 v182, vcc_lo, 0x2800, v190
	v_mad_u64_u32 v[4:5], null, s3, v204, v[1:2]
	v_add_co_ci_u32_e32 v183, vcc_lo, 0, v191, vcc_lo
	s_mul_i32 s3, s1, 0x51
	s_mul_hi_u32 s8, s0, 0x51
	s_mul_i32 s2, s0, 0x51
	s_add_i32 s3, s8, s3
	v_mad_u64_u32 v[5:6], null, s1, v205, v[3:4]
	v_mov_b32_e32 v1, v4
	s_lshl_b64 s[12:13], s[2:3], 3
	s_clause 0xa
	global_load_dwordx2 v[53:54], v[188:189], off offset:544
	global_load_dwordx2 v[51:52], v[188:189], off offset:1192
	;; [unrolled: 1-line block ×11, first 2 shown]
	v_lshlrev_b64 v[0:1], 3, v[0:1]
	v_mov_b32_e32 v3, v5
	v_add_nc_u32_e32 v12, 0x1c00, v223
	v_add_co_u32 v0, vcc_lo, s14, v0
	v_lshlrev_b64 v[2:3], 3, v[2:3]
	v_add_co_ci_u32_e32 v1, vcc_lo, s15, v1, vcc_lo
	v_add_co_u32 v0, vcc_lo, v0, v2
	v_add_co_ci_u32_e32 v1, vcc_lo, v1, v3, vcc_lo
	v_add_co_u32 v2, vcc_lo, v0, s12
	v_add_co_ci_u32_e32 v3, vcc_lo, s13, v1, vcc_lo
	global_load_dwordx2 v[9:10], v[0:1], off
	v_add_co_u32 v4, vcc_lo, v2, s12
	v_add_co_ci_u32_e32 v5, vcc_lo, s13, v3, vcc_lo
	v_add_co_u32 v6, vcc_lo, v4, s12
	v_add_co_ci_u32_e32 v7, vcc_lo, s13, v5, vcc_lo
	v_add_co_u32 v0, vcc_lo, v6, s12
	v_add_co_ci_u32_e32 v1, vcc_lo, s13, v7, vcc_lo
	s_clause 0x2
	global_load_dwordx2 v[13:14], v[2:3], off
	global_load_dwordx2 v[15:16], v[4:5], off
	global_load_dwordx2 v[5:6], v[6:7], off
	v_add_co_u32 v2, vcc_lo, v0, s12
	v_add_co_ci_u32_e32 v3, vcc_lo, s13, v1, vcc_lo
	global_load_dwordx2 v[17:18], v[0:1], off
	v_add_co_u32 v0, vcc_lo, v2, s12
	global_load_dwordx2 v[19:20], v[2:3], off
	v_add_co_ci_u32_e32 v1, vcc_lo, s13, v3, vcc_lo
	v_add_co_u32 v2, vcc_lo, v0, s12
	v_add_nc_u32_e32 v4, 0x800, v223
	v_add_co_ci_u32_e32 v3, vcc_lo, s13, v1, vcc_lo
	global_load_dwordx2 v[21:22], v[0:1], off
	v_add_co_u32 v0, vcc_lo, v2, s12
	v_add_co_ci_u32_e32 v1, vcc_lo, s13, v3, vcc_lo
	global_load_dwordx2 v[23:24], v[2:3], off
	v_add_co_u32 v2, vcc_lo, v0, s12
	;; [unrolled: 3-line block ×9, first 2 shown]
	v_add_co_ci_u32_e32 v1, vcc_lo, s13, v3, vcc_lo
	global_load_dwordx2 v[198:199], v[178:179], off offset:1528
	global_load_dwordx2 v[39:40], v[2:3], off
	global_load_dwordx2 v[200:201], v[182:183], off offset:128
	global_load_dwordx2 v[41:42], v[0:1], off
	s_load_dwordx2 s[2:3], s[4:5], 0x38
	s_load_dwordx4 s[8:11], s[10:11], 0x0
	v_add_nc_u32_e32 v2, 0x1000, v223
	v_add_nc_u32_e32 v3, 0xc00, v223
	v_cmp_gt_u16_e32 vcc_lo, 30, v11
	s_waitcnt vmcnt(18)
	v_mul_f32_e32 v7, v9, v217
	v_mul_f32_e32 v43, v10, v217
	v_fma_f32 v44, v10, v216, -v7
	v_fmac_f32_e32 v43, v9, v216
	s_waitcnt vmcnt(17)
	v_mul_f32_e32 v46, v13, v215
	v_mul_f32_e32 v45, v14, v215
	s_waitcnt vmcnt(16)
	v_mul_f32_e32 v7, v15, v207
	v_mul_f32_e32 v9, v16, v207
	v_fma_f32 v46, v14, v214, -v46
	s_waitcnt vmcnt(15)
	v_mul_f32_e32 v14, v6, v209
	v_fmac_f32_e32 v45, v13, v214
	v_fma_f32 v10, v16, v206, -v7
	v_mul_f32_e32 v7, v5, v209
	s_waitcnt vmcnt(13)
	v_mul_f32_e32 v16, v20, v52
	v_fmac_f32_e32 v14, v5, v208
	v_mul_f32_e32 v5, v18, v54
	ds_write2_b64 v223, v[43:44], v[45:46] offset1:81
	v_mul_f32_e32 v43, v17, v54
	v_mul_f32_e32 v44, v19, v52
	v_fmac_f32_e32 v16, v19, v51
	v_fmac_f32_e32 v5, v17, v53
	buffer_store_dword v53, off, s[16:19], 0 offset:24 ; 4-byte Folded Spill
	buffer_store_dword v54, off, s[16:19], 0 offset:28 ; 4-byte Folded Spill
	;; [unrolled: 1-line block ×4, first 2 shown]
	v_fmac_f32_e32 v9, v15, v206
	v_fma_f32 v15, v6, v208, -v7
	s_waitcnt vmcnt(12)
	v_mul_f32_e32 v7, v21, v50
	v_add_nc_u32_e32 v13, 0x2000, v223
	ds_write2_b64 v223, v[9:10], v[14:15] offset0:162 offset1:243
	s_waitcnt vmcnt(11)
	v_mul_f32_e32 v9, v24, v219
	v_fmac_f32_e32 v9, v23, v218
	s_waitcnt vmcnt(9)
	v_mul_f32_e32 v14, v28, v56
	v_mul_f32_e32 v15, v27, v56
	v_fmac_f32_e32 v14, v27, v55
	v_fma_f32 v6, v18, v53, -v43
	v_fma_f32 v17, v20, v51, -v44
	v_mul_f32_e32 v18, v22, v50
	s_waitcnt vmcnt(2)
	v_mul_f32_e32 v20, v40, v199
	ds_write2_b64 v4, v[5:6], v[16:17] offset0:68 offset1:149
	v_fmac_f32_e32 v18, v21, v49
	buffer_store_dword v49, off, s[16:19], 0 offset:8 ; 4-byte Folded Spill
	buffer_store_dword v50, off, s[16:19], 0 offset:12 ; 4-byte Folded Spill
	v_mul_f32_e32 v5, v26, v48
	v_mul_f32_e32 v6, v23, v219
	;; [unrolled: 1-line block ×4, first 2 shown]
	s_waitcnt vmcnt(0)
	v_mul_f32_e32 v23, v41, v201
	v_fmac_f32_e32 v5, v25, v47
	v_fma_f32 v10, v24, v218, -v6
	v_fmac_f32_e32 v16, v31, v202
	v_fmac_f32_e32 v20, v39, v198
	v_fma_f32 v21, v40, v198, -v21
	v_fma_f32 v23, v42, v200, -v23
	;; [unrolled: 1-line block ×3, first 2 shown]
	v_mul_f32_e32 v7, v25, v48
	buffer_store_dword v47, off, s[16:19], 0 ; 4-byte Folded Spill
	buffer_store_dword v48, off, s[16:19], 0 offset:4 ; 4-byte Folded Spill
	buffer_store_dword v55, off, s[16:19], 0 offset:96 ; 4-byte Folded Spill
	;; [unrolled: 1-line block ×3, first 2 shown]
	v_mul_f32_e32 v22, v42, v201
	ds_write2_b64 v3, v[18:19], v[9:10] offset0:102 offset1:183
	v_mul_f32_e32 v9, v30, v213
	v_mul_f32_e32 v18, v38, v193
	v_fmac_f32_e32 v22, v41, v200
	v_fmac_f32_e32 v9, v29, v212
	;; [unrolled: 1-line block ×3, first 2 shown]
	v_fma_f32 v6, v26, v47, -v7
	v_fma_f32 v15, v28, v55, -v15
	v_mul_f32_e32 v7, v29, v213
	ds_write2_b64 v2, v[5:6], v[14:15] offset0:136 offset1:217
	v_mul_f32_e32 v6, v31, v203
	v_fma_f32 v10, v30, v212, -v7
	v_mul_f32_e32 v7, v35, v195
	v_mul_f32_e32 v5, v34, v197
	;; [unrolled: 1-line block ×3, first 2 shown]
	v_fma_f32 v17, v32, v202, -v6
	v_mul_f32_e32 v6, v33, v197
	v_fma_f32 v15, v36, v194, -v7
	v_mul_f32_e32 v7, v37, v193
	v_fmac_f32_e32 v5, v33, v196
	v_fmac_f32_e32 v14, v35, v194
	v_fma_f32 v6, v34, v196, -v6
	v_fma_f32 v19, v38, v192, -v7
	ds_write2_b64 v8, v[9:10], v[16:17] offset0:42 offset1:123
	ds_write2_b64 v12, v[5:6], v[14:15] offset0:76 offset1:157
	;; [unrolled: 1-line block ×3, first 2 shown]
	ds_write_b64 v223, v[22:23] offset:10368
	s_and_saveexec_b32 s14, vcc_lo
	s_cbranch_execz .LBB0_3
; %bb.2:
	v_mad_u64_u32 v[0:1], null, 0xffffd918, s0, v[0:1]
	s_mulk_i32 s1, 0xd918
	s_clause 0x2
	global_load_dwordx2 v[9:10], v[190:191], off offset:408
	global_load_dwordx2 v[14:15], v[190:191], off offset:1056
	global_load_dwordx2 v[16:17], v[190:191], off offset:1704
	s_sub_i32 s0, s1, s0
	s_clause 0x4
	global_load_dwordx2 v[20:21], v[188:189], off offset:304
	global_load_dwordx2 v[22:23], v[188:189], off offset:952
	global_load_dwordx2 v[24:25], v[188:189], off offset:1600
	global_load_dwordx2 v[26:27], v[186:187], off offset:200
	global_load_dwordx2 v[30:31], v[186:187], off offset:848
	v_add_nc_u32_e32 v78, 0x400, v223
	v_add_nc_u32_e32 v1, s0, v1
	v_add_co_u32 v5, s0, v0, s12
	v_add_nc_u32_e32 v79, 0x1400, v223
	v_add_co_ci_u32_e64 v6, s0, s13, v1, s0
	v_add_co_u32 v18, s0, v5, s12
	global_load_dwordx2 v[0:1], v[0:1], off
	v_add_co_ci_u32_e64 v19, s0, s13, v6, s0
	v_add_co_u32 v28, s0, v18, s12
	global_load_dwordx2 v[5:6], v[5:6], off
	;; [unrolled: 3-line block ×6, first 2 shown]
	v_add_co_ci_u32_e64 v39, s0, s13, v37, s0
	v_add_co_u32 v40, s0, v38, s12
	v_add_co_ci_u32_e64 v41, s0, s13, v39, s0
	v_add_co_u32 v42, s0, v40, s12
	;; [unrolled: 2-line block ×3, first 2 shown]
	v_add_co_ci_u32_e64 v45, s0, s13, v43, s0
	global_load_dwordx2 v[36:37], v[36:37], off
	global_load_dwordx2 v[38:39], v[38:39], off
	;; [unrolled: 1-line block ×5, first 2 shown]
	v_add_co_u32 v44, s0, v44, s12
	v_add_co_ci_u32_e64 v45, s0, s13, v45, s0
	s_clause 0x2
	global_load_dwordx2 v[48:49], v[186:187], off offset:1496
	global_load_dwordx2 v[50:51], v[184:185], off offset:96
	;; [unrolled: 1-line block ×3, first 2 shown]
	v_add_co_u32 v54, s0, v44, s12
	v_add_co_ci_u32_e64 v55, s0, s13, v45, s0
	global_load_dwordx2 v[44:45], v[44:45], off
	v_add_co_u32 v56, s0, v54, s12
	v_add_co_ci_u32_e64 v57, s0, s13, v55, s0
	global_load_dwordx2 v[58:59], v[184:185], off offset:1392
	v_add_co_u32 v60, s0, v56, s12
	v_add_co_ci_u32_e64 v61, s0, s13, v57, s0
	global_load_dwordx2 v[54:55], v[54:55], off
	global_load_dwordx2 v[56:57], v[56:57], off
	s_clause 0x1
	global_load_dwordx2 v[62:63], v[184:185], off offset:2040
	global_load_dwordx2 v[64:65], v[178:179], off offset:640
	global_load_dwordx2 v[66:67], v[60:61], off
	v_add_co_u32 v60, s0, v60, s12
	v_add_co_ci_u32_e64 v61, s0, s13, v61, s0
	global_load_dwordx2 v[68:69], v[178:179], off offset:1288
	v_add_co_u32 v70, s0, v60, s12
	v_add_co_ci_u32_e64 v71, s0, s13, v61, s0
	global_load_dwordx2 v[60:61], v[60:61], off
	s_clause 0x1
	global_load_dwordx2 v[72:73], v[178:179], off offset:1936
	global_load_dwordx2 v[74:75], v[182:183], off offset:536
	global_load_dwordx2 v[70:71], v[70:71], off
	s_waitcnt vmcnt(25)
	v_mul_f32_e32 v76, v1, v10
	v_mul_f32_e32 v7, v0, v10
	s_waitcnt vmcnt(24)
	v_mul_f32_e32 v10, v6, v15
	v_fmac_f32_e32 v76, v0, v9
	v_fma_f32 v77, v1, v9, -v7
	v_mul_f32_e32 v1, v5, v15
	v_fmac_f32_e32 v10, v5, v14
	s_waitcnt vmcnt(23)
	v_mul_f32_e32 v0, v19, v17
	v_mul_f32_e32 v7, v18, v17
	v_fma_f32 v11, v6, v14, -v1
	s_waitcnt vmcnt(22)
	v_mul_f32_e32 v5, v29, v21
	v_mul_f32_e32 v9, v28, v21
	v_fmac_f32_e32 v0, v18, v16
	v_fma_f32 v1, v19, v16, -v7
	ds_write2_b64 v223, v[76:77], v[10:11] offset0:51 offset1:132
	v_fmac_f32_e32 v5, v28, v20
	v_fma_f32 v6, v29, v20, -v9
	s_waitcnt vmcnt(21)
	v_mul_f32_e32 v7, v32, v23
	v_mul_f32_e32 v9, v33, v23
	s_waitcnt vmcnt(20)
	v_mul_f32_e32 v14, v35, v25
	ds_write2_b64 v78, v[0:1], v[5:6] offset0:85 offset1:166
	v_fma_f32 v10, v33, v22, -v7
	v_mul_f32_e32 v1, v34, v25
	v_fmac_f32_e32 v9, v32, v22
	v_fmac_f32_e32 v14, v34, v24
	v_fma_f32 v15, v35, v24, -v1
	ds_write2_b64 v4, v[9:10], v[14:15] offset0:119 offset1:200
	s_waitcnt vmcnt(19)
	v_mul_f32_e32 v0, v37, v27
	v_mul_f32_e32 v6, v36, v27
	s_waitcnt vmcnt(18)
	v_mul_f32_e32 v5, v39, v31
	v_mul_f32_e32 v7, v38, v31
	v_fmac_f32_e32 v0, v36, v26
	v_fma_f32 v1, v37, v26, -v6
	v_fmac_f32_e32 v5, v38, v30
	v_fma_f32 v6, v39, v30, -v7
	s_waitcnt vmcnt(14)
	v_mul_f32_e32 v7, v40, v49
	v_mul_f32_e32 v16, v41, v49
	s_waitcnt vmcnt(13)
	v_mul_f32_e32 v9, v43, v51
	ds_write2_b64 v2, v[0:1], v[5:6] offset0:25 offset1:106
	v_fma_f32 v17, v41, v48, -v7
	v_mul_f32_e32 v1, v42, v51
	s_waitcnt vmcnt(12)
	v_mul_f32_e32 v6, v46, v53
	v_mul_f32_e32 v0, v47, v53
	v_fmac_f32_e32 v16, v40, v48
	s_waitcnt vmcnt(10)
	v_mul_f32_e32 v7, v44, v59
	v_fma_f32 v10, v43, v50, -v1
	v_fma_f32 v1, v47, v52, -v6
	v_mul_f32_e32 v5, v45, v59
	s_waitcnt vmcnt(6)
	v_mul_f32_e32 v11, v56, v65
	v_fma_f32 v6, v45, v58, -v7
	v_mul_f32_e32 v7, v54, v63
	v_mul_f32_e32 v14, v55, v63
	;; [unrolled: 1-line block ×3, first 2 shown]
	v_fma_f32 v19, v57, v64, -v11
	s_waitcnt vmcnt(4)
	v_mul_f32_e32 v20, v67, v69
	v_fma_f32 v15, v55, v62, -v7
	v_mul_f32_e32 v7, v66, v69
	s_waitcnt vmcnt(2)
	v_mul_f32_e32 v22, v61, v73
	v_mul_f32_e32 v11, v60, v73
	s_waitcnt vmcnt(0)
	v_mul_f32_e32 v24, v71, v75
	v_mul_f32_e32 v25, v70, v75
	v_fmac_f32_e32 v9, v42, v50
	v_fmac_f32_e32 v0, v46, v52
	;; [unrolled: 1-line block ×6, first 2 shown]
	v_fma_f32 v21, v67, v68, -v7
	v_fmac_f32_e32 v22, v60, v72
	v_fma_f32 v23, v61, v72, -v11
	v_fmac_f32_e32 v24, v70, v74
	v_fma_f32 v25, v71, v74, -v25
	ds_write2_b64 v79, v[16:17], v[9:10] offset0:59 offset1:140
	ds_write2_b64 v8, v[0:1], v[5:6] offset0:93 offset1:174
	;; [unrolled: 1-line block ×4, first 2 shown]
	ds_write_b64 v223, v[24:25] offset:10776
.LBB0_3:
	s_or_b32 exec_lo, exec_lo, s14
	s_waitcnt lgkmcnt(0)
	s_waitcnt_vscnt null, 0x0
	s_barrier
	buffer_gl0_inv
	ds_read2_b64 v[60:63], v223 offset1:81
	ds_read2_b64 v[52:55], v223 offset0:162 offset1:243
	ds_read2_b64 v[44:47], v4 offset0:68 offset1:149
	;; [unrolled: 1-line block ×7, first 2 shown]
	ds_read_b64 v[66:67], v223 offset:10368
	s_load_dwordx2 s[4:5], s[4:5], 0x8
	v_mov_b32_e32 v20, 0
	v_mov_b32_e32 v21, 0
                                        ; implicit-def: $vgpr30
                                        ; implicit-def: $vgpr24
                                        ; implicit-def: $vgpr16
                                        ; implicit-def: $vgpr12
                                        ; implicit-def: $vgpr64
                                        ; implicit-def: $vgpr42
                                        ; implicit-def: $vgpr34
                                        ; implicit-def: $vgpr38
	s_and_saveexec_b32 s0, vcc_lo
	s_cbranch_execz .LBB0_5
; %bb.4:
	v_add_nc_u32_e32 v12, 0x400, v223
	v_add_nc_u32_e32 v13, 0x800, v223
	;; [unrolled: 1-line block ×3, first 2 shown]
	ds_read2_b64 v[20:23], v223 offset0:51 offset1:132
	v_add_nc_u32_e32 v15, 0x1c00, v223
	ds_read2_b64 v[36:39], v12 offset0:85 offset1:166
	ds_read2_b64 v[32:35], v13 offset0:119 offset1:200
	v_add_nc_u32_e32 v12, 0x1400, v223
	v_add_nc_u32_e32 v13, 0x1800, v223
	;; [unrolled: 1-line block ×3, first 2 shown]
	ds_read2_b64 v[40:43], v14 offset0:25 offset1:106
	ds_read2_b64 v[28:31], v12 offset0:59 offset1:140
	;; [unrolled: 1-line block ×5, first 2 shown]
	ds_read_b64 v[64:65], v223 offset:10776
.LBB0_5:
	s_or_b32 exec_lo, exec_lo, s0
	s_waitcnt lgkmcnt(0)
	v_add_f32_e32 v68, v60, v62
	v_add_f32_e32 v69, v61, v63
	v_sub_f32_e32 v71, v63, v67
	v_add_f32_e32 v73, v67, v63
	v_add_f32_e32 v70, v66, v62
	;; [unrolled: 1-line block ×4, first 2 shown]
	v_sub_f32_e32 v72, v62, v66
	v_mul_f32_e32 v62, 0xbeb8f4ab, v71
	v_mul_f32_e32 v78, 0xbf7ee86f, v71
	v_add_f32_e32 v63, v68, v54
	v_add_f32_e32 v68, v69, v55
	v_mul_f32_e32 v79, 0xbf7ee86f, v72
	v_fma_f32 v81, 0x3f6eb680, v70, -v62
	v_fmac_f32_e32 v62, 0x3f6eb680, v70
	v_add_f32_e32 v63, v63, v44
	v_add_f32_e32 v68, v68, v45
	v_mul_f32_e32 v75, 0xbf2c7751, v72
	v_mul_f32_e32 v76, 0xbf65296c, v71
	v_add_f32_e32 v90, v60, v62
	v_add_f32_e32 v63, v63, v46
	;; [unrolled: 1-line block ×3, first 2 shown]
	v_mul_f32_e32 v77, 0xbf65296c, v72
	v_mul_f32_e32 v80, 0xbf763a35, v71
	v_fma_f32 v87, 0x3dbcf732, v70, -v78
	v_add_f32_e32 v63, v63, v4
	v_add_f32_e32 v68, v68, v5
	v_fmamk_f32 v88, v73, 0x3dbcf732, v79
	v_fmac_f32_e32 v78, 0x3dbcf732, v70
	v_fma_f32 v79, 0x3dbcf732, v73, -v79
	v_add_f32_e32 v63, v63, v6
	v_add_f32_e32 v68, v68, v7
	v_mul_f32_e32 v69, 0xbeb8f4ab, v72
	v_mul_f32_e32 v74, 0xbf2c7751, v71
	v_fmamk_f32 v84, v73, 0x3f3d2fb0, v75
	v_add_f32_e32 v63, v63, v0
	v_add_f32_e32 v68, v68, v1
	v_fma_f32 v85, 0x3ee437d1, v70, -v76
	v_fmamk_f32 v86, v73, 0x3ee437d1, v77
	v_fma_f32 v89, 0xbe8c1d8e, v70, -v80
	v_add_f32_e32 v63, v63, v2
	v_add_f32_e32 v68, v68, v3
	v_mul_f32_e32 v92, 0xbf4c4adb, v72
	v_mul_f32_e32 v94, 0xbf06c442, v71
	v_mul_f32_e32 v95, 0xbf06c442, v72
	v_add_f32_e32 v63, v63, v8
	v_add_f32_e32 v68, v68, v9
	v_sub_f32_e32 v99, v53, v59
	v_add_f32_e32 v101, v58, v52
	v_sub_f32_e32 v52, v52, v58
	v_add_f32_e32 v63, v63, v10
	v_add_f32_e32 v68, v68, v11
	v_fmamk_f32 v82, v73, 0x3f6eb680, v69
	v_fma_f32 v69, 0x3f6eb680, v73, -v69
	v_fma_f32 v83, 0x3f3d2fb0, v70, -v74
	v_add_f32_e32 v63, v63, v48
	v_add_f32_e32 v68, v68, v49
	v_fmac_f32_e32 v74, 0x3f3d2fb0, v70
	v_fma_f32 v75, 0x3f3d2fb0, v73, -v75
	v_fmac_f32_e32 v76, 0x3ee437d1, v70
	v_add_f32_e32 v62, v63, v50
	v_add_f32_e32 v63, v68, v51
	v_fma_f32 v77, 0x3ee437d1, v73, -v77
	v_add_f32_e32 v68, v61, v84
	v_add_f32_e32 v84, v60, v85
	;; [unrolled: 1-line block ×10, first 2 shown]
	v_fmac_f32_e32 v80, 0xbe8c1d8e, v70
	v_fmamk_f32 v93, v73, 0xbf1a4643, v92
	v_add_f32_e32 v62, v62, v66
	v_add_f32_e32 v63, v63, v67
	v_mul_f32_e32 v66, 0xbf763a35, v72
	v_add_f32_e32 v67, v60, v78
	v_add_f32_e32 v78, v61, v79
	v_mul_f32_e32 v79, 0xbf4c4adb, v71
	v_mul_f32_e32 v71, 0xbe3c28d5, v71
	;; [unrolled: 1-line block ×3, first 2 shown]
	v_fmamk_f32 v89, v73, 0xbe8c1d8e, v66
	v_fma_f32 v66, 0xbe8c1d8e, v73, -v66
	v_fma_f32 v91, 0xbf1a4643, v70, -v79
	v_fmac_f32_e32 v79, 0xbf1a4643, v70
	v_fma_f32 v92, 0xbf1a4643, v73, -v92
	v_fma_f32 v96, 0xbf59a7d5, v70, -v94
	v_fmamk_f32 v97, v73, 0xbf59a7d5, v95
	v_fmac_f32_e32 v94, 0xbf59a7d5, v70
	v_fma_f32 v95, 0xbf59a7d5, v73, -v95
	v_fma_f32 v98, 0xbf7ba420, v70, -v71
	v_fmamk_f32 v100, v73, 0xbf7ba420, v72
	v_mul_f32_e32 v102, 0xbf2c7751, v99
	v_fmac_f32_e32 v71, 0xbf7ba420, v70
	v_fma_f32 v58, 0xbf7ba420, v73, -v72
	v_add_f32_e32 v53, v59, v53
	v_mul_f32_e32 v70, 0xbf2c7751, v52
	v_add_f32_e32 v81, v60, v81
	v_add_f32_e32 v82, v61, v82
	;; [unrolled: 1-line block ×20, first 2 shown]
	v_fma_f32 v59, 0x3f3d2fb0, v101, -v102
	v_add_f32_e32 v72, v61, v100
	v_add_f32_e32 v60, v60, v71
	;; [unrolled: 1-line block ×3, first 2 shown]
	v_fmamk_f32 v61, v53, 0x3f3d2fb0, v70
	v_mul_f32_e32 v71, 0xbf7ee86f, v99
	v_fmac_f32_e32 v102, 0x3f3d2fb0, v101
	v_fma_f32 v70, 0x3f3d2fb0, v53, -v70
	v_mul_f32_e32 v73, 0xbf7ee86f, v52
	v_add_f32_e32 v59, v59, v81
	v_add_f32_e32 v61, v61, v82
	v_fma_f32 v81, 0x3dbcf732, v101, -v71
	v_add_f32_e32 v82, v102, v90
	v_add_f32_e32 v69, v70, v69
	v_fmamk_f32 v70, v53, 0x3dbcf732, v73
	v_mul_f32_e32 v90, 0xbf4c4adb, v99
	v_fmac_f32_e32 v71, 0x3dbcf732, v101
	v_add_f32_e32 v81, v81, v83
	v_fma_f32 v73, 0x3dbcf732, v53, -v73
	v_add_f32_e32 v68, v70, v68
	v_fma_f32 v70, 0xbf1a4643, v101, -v90
	v_mul_f32_e32 v83, 0xbf4c4adb, v52
	v_add_f32_e32 v71, v71, v74
	v_mul_f32_e32 v74, 0xbe3c28d5, v99
	v_add_f32_e32 v73, v73, v75
	v_add_f32_e32 v70, v70, v84
	v_fmamk_f32 v75, v53, 0xbf1a4643, v83
	v_fmac_f32_e32 v90, 0xbf1a4643, v101
	v_fma_f32 v83, 0xbf1a4643, v53, -v83
	v_fma_f32 v84, 0xbf7ba420, v101, -v74
	v_mul_f32_e32 v100, 0xbe3c28d5, v52
	v_add_f32_e32 v75, v75, v85
	v_add_f32_e32 v76, v90, v76
	;; [unrolled: 1-line block ×4, first 2 shown]
	v_fmamk_f32 v84, v53, 0xbf7ba420, v100
	v_mul_f32_e32 v85, 0x3f06c442, v99
	v_fmac_f32_e32 v74, 0xbf7ba420, v101
	v_fma_f32 v86, 0xbf7ba420, v53, -v100
	v_mul_f32_e32 v90, 0x3f06c442, v52
	v_add_f32_e32 v84, v84, v87
	v_fma_f32 v87, 0xbf59a7d5, v101, -v85
	v_add_f32_e32 v67, v74, v67
	v_add_f32_e32 v74, v86, v78
	v_fmamk_f32 v78, v53, 0xbf59a7d5, v90
	v_mul_f32_e32 v86, 0x3f763a35, v99
	v_add_f32_e32 v87, v87, v88
	v_fmac_f32_e32 v85, 0xbf59a7d5, v101
	v_fma_f32 v88, 0xbf59a7d5, v53, -v90
	v_add_f32_e32 v78, v78, v89
	v_fma_f32 v89, 0xbe8c1d8e, v101, -v86
	v_mul_f32_e32 v90, 0x3f763a35, v52
	v_add_f32_e32 v80, v85, v80
	v_add_f32_e32 v66, v88, v66
	v_mul_f32_e32 v85, 0x3f65296c, v99
	v_add_f32_e32 v88, v89, v91
	v_fmamk_f32 v89, v53, 0xbe8c1d8e, v90
	v_fmac_f32_e32 v86, 0xbe8c1d8e, v101
	v_fma_f32 v90, 0xbe8c1d8e, v53, -v90
	v_fma_f32 v91, 0x3ee437d1, v101, -v85
	v_mul_f32_e32 v100, 0x3f65296c, v52
	v_add_f32_e32 v89, v89, v93
	v_add_f32_e32 v79, v86, v79
	;; [unrolled: 1-line block ×3, first 2 shown]
	v_mul_f32_e32 v92, 0x3eb8f4ab, v99
	v_add_f32_e32 v90, v91, v96
	v_fmac_f32_e32 v85, 0x3ee437d1, v101
	v_fma_f32 v93, 0x3ee437d1, v53, -v100
	v_fmamk_f32 v91, v53, 0x3ee437d1, v100
	v_fma_f32 v96, 0x3f6eb680, v101, -v92
	v_mul_f32_e32 v52, 0x3eb8f4ab, v52
	v_add_f32_e32 v85, v85, v94
	v_add_f32_e32 v93, v93, v95
	v_sub_f32_e32 v94, v55, v57
	v_add_f32_e32 v95, v96, v98
	v_add_f32_e32 v96, v56, v54
	v_sub_f32_e32 v54, v54, v56
	v_add_f32_e32 v91, v91, v97
	v_fmamk_f32 v97, v53, 0x3f6eb680, v52
	v_mul_f32_e32 v56, 0xbf65296c, v94
	v_fmac_f32_e32 v92, 0x3f6eb680, v101
	v_fma_f32 v52, 0x3f6eb680, v53, -v52
	v_add_f32_e32 v53, v57, v55
	v_mul_f32_e32 v55, 0xbf65296c, v54
	v_fma_f32 v57, 0x3ee437d1, v96, -v56
	v_add_f32_e32 v60, v92, v60
	v_add_f32_e32 v52, v52, v58
	v_mul_f32_e32 v58, 0xbf4c4adb, v94
	v_fmamk_f32 v92, v53, 0x3ee437d1, v55
	v_add_f32_e32 v57, v57, v59
	v_fmac_f32_e32 v56, 0x3ee437d1, v96
	v_fma_f32 v55, 0x3ee437d1, v53, -v55
	v_fma_f32 v59, 0xbf1a4643, v96, -v58
	v_add_f32_e32 v61, v92, v61
	v_mul_f32_e32 v92, 0xbf4c4adb, v54
	v_add_f32_e32 v56, v56, v82
	v_add_f32_e32 v55, v55, v69
	v_add_f32_e32 v59, v59, v81
	v_mul_f32_e32 v69, 0x3e3c28d5, v94
	v_fmamk_f32 v81, v53, 0xbf1a4643, v92
	v_fmac_f32_e32 v58, 0xbf1a4643, v96
	v_fma_f32 v82, 0xbf1a4643, v53, -v92
	v_mul_f32_e32 v92, 0x3e3c28d5, v54
	v_add_f32_e32 v72, v97, v72
	v_fma_f32 v97, 0xbf7ba420, v96, -v69
	v_add_f32_e32 v68, v81, v68
	v_add_f32_e32 v58, v58, v71
	;; [unrolled: 1-line block ×3, first 2 shown]
	v_fmamk_f32 v73, v53, 0xbf7ba420, v92
	v_mul_f32_e32 v81, 0x3f763a35, v94
	v_fmac_f32_e32 v69, 0xbf7ba420, v96
	v_fma_f32 v82, 0xbf7ba420, v53, -v92
	v_add_f32_e32 v70, v97, v70
	v_add_f32_e32 v73, v73, v75
	v_mul_f32_e32 v75, 0x3f763a35, v54
	v_fma_f32 v92, 0xbe8c1d8e, v96, -v81
	v_add_f32_e32 v69, v69, v76
	v_add_f32_e32 v76, v82, v77
	v_mul_f32_e32 v77, 0x3f2c7751, v94
	v_fmamk_f32 v82, v53, 0xbe8c1d8e, v75
	v_add_f32_e32 v83, v92, v83
	v_fmac_f32_e32 v81, 0xbe8c1d8e, v96
	v_fma_f32 v75, 0xbe8c1d8e, v53, -v75
	v_fma_f32 v92, 0x3f3d2fb0, v96, -v77
	v_add_f32_e32 v82, v82, v84
	v_mul_f32_e32 v84, 0x3f2c7751, v54
	v_add_f32_e32 v67, v81, v67
	v_add_f32_e32 v74, v75, v74
	;; [unrolled: 1-line block ×3, first 2 shown]
	v_mul_f32_e32 v81, 0xbeb8f4ab, v94
	v_fmac_f32_e32 v77, 0x3f3d2fb0, v96
	v_mul_f32_e32 v92, 0xbeb8f4ab, v54
	v_fmamk_f32 v87, v53, 0x3f3d2fb0, v84
	v_fma_f32 v84, 0x3f3d2fb0, v53, -v84
	v_fma_f32 v97, 0x3f6eb680, v96, -v81
	v_add_f32_e32 v77, v77, v80
	v_fmamk_f32 v80, v53, 0x3f6eb680, v92
	v_add_f32_e32 v78, v87, v78
	v_add_f32_e32 v66, v84, v66
	;; [unrolled: 1-line block ×3, first 2 shown]
	v_mul_f32_e32 v87, 0xbf7ee86f, v94
	v_fmac_f32_e32 v81, 0x3f6eb680, v96
	v_fma_f32 v88, 0x3f6eb680, v53, -v92
	v_add_f32_e32 v80, v80, v89
	v_mul_f32_e32 v89, 0xbf7ee86f, v54
	v_fma_f32 v92, 0x3dbcf732, v96, -v87
	v_add_f32_e32 v79, v81, v79
	v_add_f32_e32 v81, v88, v86
	v_mul_f32_e32 v86, 0xbf06c442, v94
	v_fmamk_f32 v88, v53, 0x3dbcf732, v89
	v_fmac_f32_e32 v87, 0x3dbcf732, v96
	v_fma_f32 v89, 0x3dbcf732, v53, -v89
	v_add_f32_e32 v90, v92, v90
	v_fma_f32 v92, 0xbf59a7d5, v96, -v86
	v_add_f32_e32 v88, v88, v91
	v_mul_f32_e32 v54, 0xbf06c442, v54
	v_add_f32_e32 v85, v87, v85
	v_add_f32_e32 v87, v89, v93
	v_sub_f32_e32 v91, v45, v51
	v_sub_f32_e32 v93, v44, v50
	v_add_f32_e32 v89, v92, v95
	v_fmamk_f32 v92, v53, 0xbf59a7d5, v54
	v_fmac_f32_e32 v86, 0xbf59a7d5, v96
	v_add_f32_e32 v44, v50, v44
	v_mul_f32_e32 v50, 0xbf7ee86f, v91
	v_fma_f32 v53, 0xbf59a7d5, v53, -v54
	v_add_f32_e32 v45, v51, v45
	v_mul_f32_e32 v51, 0xbf7ee86f, v93
	v_add_f32_e32 v54, v92, v72
	v_fma_f32 v72, 0x3dbcf732, v44, -v50
	v_add_f32_e32 v60, v86, v60
	v_add_f32_e32 v52, v53, v52
	v_fmamk_f32 v53, v45, 0x3dbcf732, v51
	v_mul_f32_e32 v86, 0xbe3c28d5, v91
	v_fma_f32 v51, 0x3dbcf732, v45, -v51
	v_add_f32_e32 v57, v72, v57
	v_fmac_f32_e32 v50, 0x3dbcf732, v44
	v_add_f32_e32 v53, v53, v61
	v_fma_f32 v61, 0xbf7ba420, v44, -v86
	v_mul_f32_e32 v72, 0xbe3c28d5, v93
	v_add_f32_e32 v51, v51, v55
	v_mul_f32_e32 v55, 0x3f763a35, v91
	v_add_f32_e32 v50, v50, v56
	v_add_f32_e32 v56, v61, v59
	v_fmamk_f32 v59, v45, 0xbf7ba420, v72
	v_fma_f32 v61, 0xbf7ba420, v45, -v72
	v_fma_f32 v72, 0xbe8c1d8e, v44, -v55
	v_mul_f32_e32 v92, 0x3f763a35, v93
	v_fmac_f32_e32 v86, 0xbf7ba420, v44
	v_add_f32_e32 v59, v59, v68
	v_add_f32_e32 v61, v61, v71
	;; [unrolled: 1-line block ×3, first 2 shown]
	v_fmamk_f32 v70, v45, 0xbe8c1d8e, v92
	v_mul_f32_e32 v71, 0x3eb8f4ab, v91
	v_add_f32_e32 v58, v86, v58
	v_fmac_f32_e32 v55, 0xbe8c1d8e, v44
	v_fma_f32 v72, 0xbe8c1d8e, v45, -v92
	v_mul_f32_e32 v86, 0x3eb8f4ab, v93
	v_add_f32_e32 v70, v70, v73
	v_fma_f32 v73, 0x3f6eb680, v44, -v71
	v_add_f32_e32 v55, v55, v69
	v_add_f32_e32 v69, v72, v76
	v_fmamk_f32 v72, v45, 0x3f6eb680, v86
	v_mul_f32_e32 v76, 0xbf65296c, v91
	v_add_f32_e32 v73, v73, v83
	v_fmac_f32_e32 v71, 0x3f6eb680, v44
	v_fma_f32 v83, 0x3f6eb680, v45, -v86
	v_add_f32_e32 v72, v72, v82
	v_fma_f32 v82, 0x3ee437d1, v44, -v76
	v_mul_f32_e32 v86, 0xbf65296c, v93
	v_add_f32_e32 v67, v71, v67
	v_add_f32_e32 v71, v83, v74
	v_mul_f32_e32 v74, 0xbf06c442, v91
	v_add_f32_e32 v75, v82, v75
	v_fmamk_f32 v82, v45, 0x3ee437d1, v86
	v_fmac_f32_e32 v76, 0x3ee437d1, v44
	v_fma_f32 v83, 0x3ee437d1, v45, -v86
	v_fma_f32 v86, 0xbf59a7d5, v44, -v74
	v_mul_f32_e32 v92, 0xbf06c442, v93
	v_add_f32_e32 v78, v82, v78
	v_add_f32_e32 v76, v76, v77
	;; [unrolled: 1-line block ×4, first 2 shown]
	v_fmamk_f32 v82, v45, 0xbf59a7d5, v92
	v_mul_f32_e32 v83, 0x3f4c4adb, v91
	v_fmac_f32_e32 v74, 0xbf59a7d5, v44
	v_mul_f32_e32 v84, 0x3f4c4adb, v93
	v_fma_f32 v86, 0xbf59a7d5, v45, -v92
	v_add_f32_e32 v80, v82, v80
	v_fma_f32 v82, 0xbf1a4643, v44, -v83
	v_add_f32_e32 v74, v74, v79
	v_fmamk_f32 v79, v45, 0xbf1a4643, v84
	v_add_f32_e32 v81, v86, v81
	v_mul_f32_e32 v86, 0x3f2c7751, v91
	v_fmac_f32_e32 v83, 0xbf1a4643, v44
	v_fma_f32 v84, 0xbf1a4643, v45, -v84
	v_add_f32_e32 v79, v79, v88
	v_add_f32_e32 v82, v82, v90
	v_fma_f32 v88, 0x3f3d2fb0, v44, -v86
	v_add_f32_e32 v83, v83, v85
	v_sub_f32_e32 v85, v47, v49
	v_mul_f32_e32 v90, 0x3f2c7751, v93
	v_add_f32_e32 v84, v84, v87
	v_add_f32_e32 v87, v88, v89
	;; [unrolled: 1-line block ×3, first 2 shown]
	v_mul_f32_e32 v91, 0xbf763a35, v85
	v_sub_f32_e32 v46, v46, v48
	v_fmamk_f32 v88, v45, 0x3f3d2fb0, v90
	v_fmac_f32_e32 v86, 0x3f3d2fb0, v44
	v_fma_f32 v44, 0x3f3d2fb0, v45, -v90
	v_add_f32_e32 v45, v49, v47
	v_fma_f32 v47, 0xbe8c1d8e, v89, -v91
	v_mul_f32_e32 v48, 0xbf763a35, v46
	v_add_f32_e32 v49, v88, v54
	v_add_f32_e32 v44, v44, v52
	;; [unrolled: 1-line block ×4, first 2 shown]
	v_fmamk_f32 v52, v45, 0xbe8c1d8e, v48
	v_mul_f32_e32 v57, 0x3f06c442, v85
	v_fma_f32 v48, 0xbe8c1d8e, v45, -v48
	v_mul_f32_e32 v60, 0x3f06c442, v46
	v_mul_f32_e32 v86, 0x3f2c7751, v85
	v_add_f32_e32 v52, v52, v53
	v_fma_f32 v53, 0xbf59a7d5, v89, -v57
	v_add_f32_e32 v48, v48, v51
	v_fmamk_f32 v51, v45, 0xbf59a7d5, v60
	v_fmac_f32_e32 v57, 0xbf59a7d5, v89
	v_mul_f32_e32 v88, 0xbf65296c, v46
	v_add_f32_e32 v53, v53, v56
	v_fma_f32 v56, 0xbf59a7d5, v45, -v60
	v_mul_f32_e32 v60, 0x3f2c7751, v46
	v_add_f32_e32 v51, v51, v59
	v_fma_f32 v59, 0x3f3d2fb0, v89, -v86
	v_add_f32_e32 v57, v57, v58
	v_add_f32_e32 v56, v56, v61
	v_mul_f32_e32 v58, 0xbf65296c, v85
	v_fmamk_f32 v61, v45, 0x3f3d2fb0, v60
	v_fma_f32 v60, 0x3f3d2fb0, v45, -v60
	v_add_f32_e32 v59, v59, v68
	v_fmac_f32_e32 v86, 0x3f3d2fb0, v89
	v_fma_f32 v68, 0x3ee437d1, v89, -v58
	v_add_f32_e32 v61, v61, v70
	v_add_f32_e32 v60, v60, v69
	v_fmamk_f32 v69, v45, 0x3ee437d1, v88
	v_mul_f32_e32 v70, 0xbe3c28d5, v85
	v_add_f32_e32 v55, v86, v55
	v_add_f32_e32 v68, v68, v73
	v_fmac_f32_e32 v58, 0x3ee437d1, v89
	v_fma_f32 v73, 0x3ee437d1, v45, -v88
	v_mul_f32_e32 v86, 0xbe3c28d5, v46
	v_add_f32_e32 v69, v69, v72
	v_fma_f32 v72, 0xbf7ba420, v89, -v70
	v_add_f32_e32 v58, v58, v67
	v_add_f32_e32 v67, v73, v71
	v_fmamk_f32 v71, v45, 0xbf7ba420, v86
	v_mul_f32_e32 v73, 0x3f7ee86f, v85
	v_add_f32_e32 v72, v72, v75
	v_fma_f32 v75, 0xbf7ba420, v45, -v86
	v_fmac_f32_e32 v70, 0xbf7ba420, v89
	v_add_f32_e32 v71, v71, v78
	v_fma_f32 v78, 0x3dbcf732, v89, -v73
	v_mul_f32_e32 v86, 0x3f7ee86f, v46
	v_add_f32_e32 v66, v75, v66
	v_mul_f32_e32 v75, 0xbeb8f4ab, v85
	v_add_f32_e32 v70, v70, v76
	v_add_f32_e32 v76, v78, v77
	v_fmamk_f32 v77, v45, 0x3dbcf732, v86
	v_fmac_f32_e32 v73, 0x3dbcf732, v89
	v_fma_f32 v78, 0x3dbcf732, v45, -v86
	v_fma_f32 v86, 0x3f6eb680, v89, -v75
	v_mul_f32_e32 v88, 0xbeb8f4ab, v46
	v_fmac_f32_e32 v75, 0x3f6eb680, v89
	v_add_f32_e32 v73, v73, v74
	v_add_f32_e32 v74, v78, v81
	;; [unrolled: 1-line block ×3, first 2 shown]
	v_fma_f32 v82, 0x3f6eb680, v45, -v88
	v_add_f32_e32 v77, v77, v80
	v_fmamk_f32 v80, v45, 0x3f6eb680, v88
	v_mul_f32_e32 v81, 0xbf4c4adb, v85
	v_mul_f32_e32 v46, 0xbf4c4adb, v46
	v_add_f32_e32 v75, v75, v83
	v_add_f32_e32 v82, v82, v84
	v_sub_f32_e32 v83, v5, v11
	v_add_f32_e32 v84, v10, v4
	v_sub_f32_e32 v4, v4, v10
	v_add_f32_e32 v79, v80, v79
	v_fma_f32 v80, 0xbf1a4643, v89, -v81
	v_fmamk_f32 v85, v45, 0xbf1a4643, v46
	v_mul_f32_e32 v10, 0xbf4c4adb, v83
	v_fmac_f32_e32 v81, 0xbf1a4643, v89
	v_fma_f32 v45, 0xbf1a4643, v45, -v46
	v_add_f32_e32 v5, v11, v5
	v_mul_f32_e32 v11, 0xbf4c4adb, v4
	v_fmac_f32_e32 v91, 0xbe8c1d8e, v89
	v_fma_f32 v46, 0xbf1a4643, v84, -v10
	v_add_f32_e32 v54, v81, v54
	v_add_f32_e32 v44, v45, v44
	v_mul_f32_e32 v45, 0x3f763a35, v83
	v_fmamk_f32 v81, v5, 0xbf1a4643, v11
	v_add_f32_e32 v50, v91, v50
	v_add_f32_e32 v46, v46, v47
	v_fmac_f32_e32 v10, 0xbf1a4643, v84
	v_fma_f32 v11, 0xbf1a4643, v5, -v11
	v_fma_f32 v47, 0xbe8c1d8e, v84, -v45
	v_add_f32_e32 v52, v81, v52
	v_mul_f32_e32 v81, 0x3f763a35, v4
	v_add_f32_e32 v10, v10, v50
	v_add_f32_e32 v11, v11, v48
	;; [unrolled: 1-line block ×3, first 2 shown]
	v_mul_f32_e32 v48, 0xbeb8f4ab, v83
	v_fmamk_f32 v50, v5, 0xbe8c1d8e, v81
	v_fma_f32 v53, 0xbe8c1d8e, v5, -v81
	v_mul_f32_e32 v81, 0xbeb8f4ab, v4
	v_add_f32_e32 v49, v85, v49
	v_fmac_f32_e32 v45, 0xbe8c1d8e, v84
	v_fma_f32 v85, 0x3f6eb680, v84, -v48
	v_add_f32_e32 v50, v50, v51
	v_add_f32_e32 v51, v53, v56
	v_fmamk_f32 v53, v5, 0x3f6eb680, v81
	v_add_f32_e32 v45, v45, v57
	v_add_f32_e32 v56, v85, v59
	v_mul_f32_e32 v57, 0xbf06c442, v83
	v_fmac_f32_e32 v48, 0x3f6eb680, v84
	v_fma_f32 v59, 0x3f6eb680, v5, -v81
	v_add_f32_e32 v53, v53, v61
	v_mul_f32_e32 v61, 0xbf06c442, v4
	v_fma_f32 v81, 0xbf59a7d5, v84, -v57
	v_add_f32_e32 v48, v48, v55
	v_add_f32_e32 v55, v59, v60
	v_mul_f32_e32 v59, 0x3f7ee86f, v83
	v_fmamk_f32 v60, v5, 0xbf59a7d5, v61
	v_fmac_f32_e32 v57, 0xbf59a7d5, v84
	v_fma_f32 v61, 0xbf59a7d5, v5, -v61
	v_add_f32_e32 v68, v81, v68
	v_fma_f32 v81, 0x3dbcf732, v84, -v59
	v_add_f32_e32 v60, v60, v69
	v_mul_f32_e32 v69, 0x3f7ee86f, v4
	v_add_f32_e32 v57, v57, v58
	v_add_f32_e32 v58, v61, v67
	v_mul_f32_e32 v67, 0xbf2c7751, v83
	v_add_f32_e32 v61, v81, v72
	v_fmamk_f32 v72, v5, 0x3dbcf732, v69
	v_fmac_f32_e32 v59, 0x3dbcf732, v84
	v_fma_f32 v69, 0x3dbcf732, v5, -v69
	v_mul_f32_e32 v81, 0xbf2c7751, v4
	v_fma_f32 v85, 0x3f3d2fb0, v84, -v67
	v_add_f32_e32 v71, v72, v71
	v_add_f32_e32 v59, v59, v70
	;; [unrolled: 1-line block ×3, first 2 shown]
	v_fmamk_f32 v69, v5, 0x3f3d2fb0, v81
	v_add_f32_e32 v70, v85, v76
	v_mul_f32_e32 v72, 0xbe3c28d5, v83
	v_fmac_f32_e32 v67, 0x3f3d2fb0, v84
	v_fma_f32 v76, 0x3f3d2fb0, v5, -v81
	v_add_f32_e32 v69, v69, v77
	v_mul_f32_e32 v77, 0xbe3c28d5, v4
	v_fma_f32 v81, 0xbf7ba420, v84, -v72
	v_add_f32_e32 v67, v67, v73
	v_add_f32_e32 v73, v76, v74
	v_mul_f32_e32 v74, 0x3f65296c, v83
	v_add_f32_e32 v80, v80, v87
	v_fmamk_f32 v76, v5, 0xbf7ba420, v77
	v_add_f32_e32 v78, v81, v78
	v_fmac_f32_e32 v72, 0xbf7ba420, v84
	v_fma_f32 v77, 0xbf7ba420, v5, -v77
	v_fma_f32 v81, 0x3ee437d1, v84, -v74
	v_add_f32_e32 v76, v76, v79
	v_mul_f32_e32 v4, 0x3f65296c, v4
	v_add_f32_e32 v72, v72, v75
	v_add_f32_e32 v75, v77, v82
	;; [unrolled: 1-line block ×3, first 2 shown]
	v_sub_f32_e32 v79, v7, v9
	v_sub_f32_e32 v81, v6, v8
	v_fmamk_f32 v80, v5, 0x3ee437d1, v4
	v_fmac_f32_e32 v74, 0x3ee437d1, v84
	v_add_f32_e32 v6, v8, v6
	v_mul_f32_e32 v8, 0xbf06c442, v79
	v_fma_f32 v4, 0x3ee437d1, v5, -v4
	v_add_f32_e32 v5, v9, v7
	v_mul_f32_e32 v7, 0xbf06c442, v81
	v_add_f32_e32 v9, v80, v49
	v_fma_f32 v49, 0xbf59a7d5, v6, -v8
	v_add_f32_e32 v54, v74, v54
	v_add_f32_e32 v4, v4, v44
	v_fmamk_f32 v44, v5, 0xbf59a7d5, v7
	v_mul_f32_e32 v74, 0x3f65296c, v79
	v_fmac_f32_e32 v8, 0xbf59a7d5, v6
	v_add_f32_e32 v46, v49, v46
	v_fma_f32 v7, 0xbf59a7d5, v5, -v7
	v_add_f32_e32 v44, v44, v52
	v_fma_f32 v49, 0x3ee437d1, v6, -v74
	v_mul_f32_e32 v52, 0x3f65296c, v81
	v_add_f32_e32 v8, v8, v10
	v_mul_f32_e32 v10, 0xbf7ee86f, v79
	v_add_f32_e32 v7, v7, v11
	v_add_f32_e32 v11, v49, v47
	v_fmamk_f32 v47, v5, 0x3ee437d1, v52
	v_fmac_f32_e32 v74, 0x3ee437d1, v6
	v_fma_f32 v49, 0x3ee437d1, v5, -v52
	v_fma_f32 v52, 0x3dbcf732, v6, -v10
	v_mul_f32_e32 v80, 0xbf7ee86f, v81
	v_add_f32_e32 v47, v47, v50
	v_add_f32_e32 v50, v74, v45
	;; [unrolled: 1-line block ×4, first 2 shown]
	v_fmamk_f32 v45, v5, 0x3dbcf732, v80
	v_mul_f32_e32 v52, 0x3f4c4adb, v79
	v_fmac_f32_e32 v10, 0x3dbcf732, v6
	v_fma_f32 v56, 0x3dbcf732, v5, -v80
	v_mul_f32_e32 v74, 0x3f4c4adb, v81
	v_add_f32_e32 v53, v45, v53
	v_fma_f32 v45, 0xbf1a4643, v6, -v52
	v_add_f32_e32 v10, v10, v48
	v_add_f32_e32 v55, v56, v55
	v_fmamk_f32 v48, v5, 0xbf1a4643, v74
	v_mul_f32_e32 v56, 0xbeb8f4ab, v79
	v_add_f32_e32 v68, v45, v68
	v_fmac_f32_e32 v52, 0xbf1a4643, v6
	v_fma_f32 v45, 0xbf1a4643, v5, -v74
	v_add_f32_e32 v60, v48, v60
	v_fma_f32 v48, 0x3f6eb680, v6, -v56
	v_mul_f32_e32 v74, 0xbeb8f4ab, v81
	v_add_f32_e32 v52, v52, v57
	v_add_f32_e32 v57, v45, v58
	v_mul_f32_e32 v45, 0xbe3c28d5, v79
	v_add_f32_e32 v58, v48, v61
	v_fmamk_f32 v48, v5, 0x3f6eb680, v74
	v_fmac_f32_e32 v56, 0x3f6eb680, v6
	v_fma_f32 v61, 0x3f6eb680, v5, -v74
	v_mul_f32_e32 v80, 0xbe3c28d5, v81
	v_fma_f32 v74, 0xbf7ba420, v6, -v45
	v_add_f32_e32 v71, v48, v71
	v_add_f32_e32 v56, v56, v59
	;; [unrolled: 1-line block ×3, first 2 shown]
	v_fmamk_f32 v48, v5, 0xbf7ba420, v80
	v_mul_f32_e32 v66, 0x3f2c7751, v79
	v_add_f32_e32 v61, v74, v70
	v_mul_f32_e32 v74, 0x3f2c7751, v81
	v_fmac_f32_e32 v45, 0xbf7ba420, v6
	v_add_f32_e32 v69, v48, v69
	v_fma_f32 v48, 0x3f3d2fb0, v6, -v66
	v_fma_f32 v70, 0xbf7ba420, v5, -v80
	v_fmac_f32_e32 v66, 0x3f3d2fb0, v6
	v_add_f32_e32 v67, v45, v67
	v_fmamk_f32 v45, v5, 0x3f3d2fb0, v74
	v_add_f32_e32 v78, v48, v78
	v_fma_f32 v48, 0x3f3d2fb0, v5, -v74
	v_add_f32_e32 v70, v70, v73
	v_mul_f32_e32 v73, 0xbf763a35, v79
	v_add_f32_e32 v66, v66, v72
	v_add_f32_e32 v74, v45, v76
	;; [unrolled: 1-line block ×3, first 2 shown]
	v_sub_f32_e32 v75, v1, v3
	v_fma_f32 v45, 0xbe8c1d8e, v6, -v73
	v_mul_f32_e32 v76, 0xbf763a35, v81
	v_add_f32_e32 v79, v2, v0
	v_sub_f32_e32 v80, v0, v2
	v_mul_f32_e32 v2, 0xbe3c28d5, v75
	v_add_f32_e32 v77, v45, v77
	v_fmamk_f32 v45, v5, 0xbe8c1d8e, v76
	v_fma_f32 v0, 0xbe8c1d8e, v5, -v76
	v_add_f32_e32 v76, v3, v1
	v_mul_f32_e32 v1, 0xbe3c28d5, v80
	v_fma_f32 v3, 0xbf7ba420, v79, -v2
	v_mul_f32_e32 v5, 0x3eb8f4ab, v75
	v_add_f32_e32 v82, v0, v4
	v_fmac_f32_e32 v2, 0xbf7ba420, v79
	v_fmamk_f32 v4, v76, 0xbf7ba420, v1
	v_add_f32_e32 v0, v3, v46
	v_fma_f32 v3, 0xbf7ba420, v76, -v1
	v_fmac_f32_e32 v73, 0xbe8c1d8e, v6
	v_add_f32_e32 v81, v45, v9
	v_add_f32_e32 v1, v4, v44
	v_mul_f32_e32 v4, 0x3eb8f4ab, v80
	v_fma_f32 v6, 0x3f6eb680, v79, -v5
	v_add_f32_e32 v44, v2, v8
	v_add_f32_e32 v45, v3, v7
	v_mul_f32_e32 v8, 0xbf06c442, v75
	v_fmac_f32_e32 v5, 0x3f6eb680, v79
	v_mul_f32_e32 v7, 0xbf06c442, v80
	v_fmamk_f32 v3, v76, 0x3f6eb680, v4
	v_add_f32_e32 v2, v6, v11
	v_fma_f32 v4, 0x3f6eb680, v76, -v4
	v_fma_f32 v6, 0xbf59a7d5, v79, -v8
	v_add_f32_e32 v46, v5, v50
	v_mul_f32_e32 v9, 0x3f2c7751, v75
	v_fmac_f32_e32 v8, 0xbf59a7d5, v79
	v_fma_f32 v5, 0xbf59a7d5, v76, -v7
	v_mul_f32_e32 v11, 0x3f2c7751, v80
	v_add_f32_e32 v3, v3, v47
	v_add_f32_e32 v47, v4, v49
	v_fmamk_f32 v4, v76, 0xbf59a7d5, v7
	v_fma_f32 v50, 0x3f3d2fb0, v79, -v9
	v_add_f32_e32 v48, v8, v10
	v_add_f32_e32 v49, v5, v55
	v_fmamk_f32 v5, v76, 0x3f3d2fb0, v11
	v_mul_f32_e32 v8, 0xbf4c4adb, v75
	v_fmac_f32_e32 v9, 0x3f3d2fb0, v79
	v_fma_f32 v10, 0x3f3d2fb0, v76, -v11
	v_mul_f32_e32 v11, 0xbf4c4adb, v80
	v_add_f32_e32 v73, v73, v54
	v_add_f32_e32 v7, v4, v53
	;; [unrolled: 1-line block ×3, first 2 shown]
	v_fma_f32 v53, 0xbf1a4643, v79, -v8
	v_add_f32_e32 v50, v9, v52
	v_mul_f32_e32 v54, 0x3f65296c, v75
	v_fmamk_f32 v9, v76, 0xbf1a4643, v11
	v_fmac_f32_e32 v8, 0xbf1a4643, v79
	v_add_f32_e32 v6, v6, v51
	v_add_f32_e32 v51, v10, v57
	v_add_f32_e32 v10, v53, v58
	v_fma_f32 v53, 0xbf1a4643, v76, -v11
	v_fma_f32 v55, 0x3ee437d1, v79, -v54
	v_add_f32_e32 v11, v9, v71
	v_mul_f32_e32 v9, 0x3f65296c, v80
	v_add_f32_e32 v52, v8, v56
	v_mul_f32_e32 v56, 0xbf763a35, v75
	v_fmac_f32_e32 v54, 0x3ee437d1, v79
	v_add_f32_e32 v53, v53, v59
	v_add_f32_e32 v8, v55, v61
	v_fmamk_f32 v55, v76, 0x3ee437d1, v9
	v_fma_f32 v58, 0x3ee437d1, v76, -v9
	v_fma_f32 v59, 0xbe8c1d8e, v79, -v56
	v_add_f32_e32 v54, v54, v67
	v_mul_f32_e32 v67, 0x3f7ee86f, v75
	v_mul_f32_e32 v68, 0x3f7ee86f, v80
	v_sub_f32_e32 v113, v23, v65
	v_sub_f32_e32 v119, v22, v64
	v_add_f32_e32 v5, v5, v60
	v_add_f32_e32 v9, v55, v69
	;; [unrolled: 1-line block ×4, first 2 shown]
	v_fmac_f32_e32 v56, 0xbe8c1d8e, v79
	v_fma_f32 v58, 0x3dbcf732, v79, -v67
	v_fmamk_f32 v59, v76, 0x3dbcf732, v68
	v_add_f32_e32 v107, v64, v22
	v_mul_f32_e32 v117, 0xbeb8f4ab, v113
	v_fmac_f32_e32 v67, 0x3dbcf732, v79
	v_fma_f32 v68, 0x3dbcf732, v76, -v68
	v_add_f32_e32 v116, v65, v23
	v_mul_f32_e32 v120, 0xbeb8f4ab, v119
	v_mul_f32_e32 v57, 0xbf763a35, v80
	v_add_f32_e32 v56, v56, v66
	v_fmamk_f32 v69, v107, 0x3f6eb680, v117
	v_add_f32_e32 v66, v67, v73
	v_add_f32_e32 v67, v68, v82
	v_mul_f32_e32 v122, 0xbf2c7751, v113
	v_fma_f32 v68, 0x3f6eb680, v116, -v120
	v_mul_f32_e32 v124, 0xbf65296c, v113
	v_fmamk_f32 v61, v76, 0xbe8c1d8e, v57
	v_add_f32_e32 v70, v69, v20
	v_fmamk_f32 v69, v107, 0x3f3d2fb0, v122
	v_add_f32_e32 v73, v68, v21
	v_fmamk_f32 v68, v107, 0x3ee437d1, v124
	v_mul_f32_e32 v129, 0xbf7ee86f, v113
	v_sub_f32_e32 v115, v37, v15
	v_add_f32_e32 v61, v61, v74
	v_fma_f32 v57, 0xbe8c1d8e, v76, -v57
	v_mul_f32_e32 v126, 0xbf65296c, v119
	v_add_f32_e32 v74, v69, v20
	v_add_f32_e32 v75, v68, v20
	v_fmamk_f32 v69, v107, 0x3dbcf732, v129
	v_mul_f32_e32 v135, 0xbf763a35, v113
	v_add_f32_e32 v68, v14, v36
	v_mul_f32_e32 v79, 0xbf2c7751, v115
	v_sub_f32_e32 v121, v36, v14
	v_add_f32_e32 v57, v57, v72
	v_add_f32_e32 v58, v58, v77
	;; [unrolled: 1-line block ×3, first 2 shown]
	v_fma_f32 v72, 0x3ee437d1, v116, -v126
	v_mul_f32_e32 v134, 0xbf7ee86f, v119
	v_add_f32_e32 v78, v69, v20
	v_fmamk_f32 v77, v107, 0xbe8c1d8e, v135
	v_fmamk_f32 v80, v68, 0x3f3d2fb0, v79
	v_add_f32_e32 v69, v15, v37
	v_mul_f32_e32 v81, 0xbf2c7751, v121
	v_mul_f32_e32 v123, 0xbf2c7751, v119
	v_add_f32_e32 v76, v72, v21
	v_fma_f32 v72, 0x3dbcf732, v116, -v134
	v_add_f32_e32 v83, v77, v20
	v_add_f32_e32 v80, v80, v70
	v_mul_f32_e32 v70, 0xbf7ee86f, v115
	v_fma_f32 v77, 0x3f3d2fb0, v69, -v81
	v_mul_f32_e32 v91, 0xbf4c4adb, v121
	v_fma_f32 v71, 0x3f3d2fb0, v116, -v123
	v_add_f32_e32 v82, v72, v21
	v_mul_f32_e32 v72, 0xbf7ee86f, v121
	v_mul_f32_e32 v87, 0xbf4c4adb, v115
	v_fmamk_f32 v84, v68, 0x3dbcf732, v70
	v_add_f32_e32 v86, v77, v73
	v_fma_f32 v77, 0xbf1a4643, v69, -v91
	v_add_f32_e32 v71, v71, v21
	v_fma_f32 v85, 0x3dbcf732, v69, -v72
	v_fmamk_f32 v73, v68, 0xbf1a4643, v87
	v_add_f32_e32 v84, v84, v74
	v_mul_f32_e32 v74, 0xbe3c28d5, v115
	v_add_f32_e32 v76, v77, v76
	v_mul_f32_e32 v77, 0xbe3c28d5, v121
	v_sub_f32_e32 v131, v39, v13
	v_sub_f32_e32 v133, v38, v12
	v_add_f32_e32 v85, v85, v71
	v_add_f32_e32 v88, v73, v75
	v_fmamk_f32 v75, v68, 0xbf7ba420, v74
	v_mul_f32_e32 v104, 0x3f06c442, v115
	v_add_f32_e32 v71, v12, v38
	v_mul_f32_e32 v89, 0xbf65296c, v131
	v_fma_f32 v90, 0xbf7ba420, v69, -v77
	v_add_f32_e32 v73, v13, v39
	v_mul_f32_e32 v92, 0xbf65296c, v133
	v_fmamk_f32 v93, v68, 0xbf59a7d5, v104
	v_fmamk_f32 v94, v71, 0x3ee437d1, v89
	v_add_f32_e32 v95, v75, v78
	v_add_f32_e32 v90, v90, v82
	v_fma_f32 v82, 0x3ee437d1, v73, -v92
	v_mul_f32_e32 v75, 0xbf4c4adb, v131
	v_mul_f32_e32 v98, 0x3e3c28d5, v131
	;; [unrolled: 1-line block ×3, first 2 shown]
	v_add_f32_e32 v96, v93, v83
	v_add_f32_e32 v94, v94, v80
	v_mul_f32_e32 v78, 0xbf4c4adb, v133
	v_add_f32_e32 v86, v82, v86
	v_fmamk_f32 v80, v71, 0xbf1a4643, v75
	v_mul_f32_e32 v82, 0x3f763a35, v131
	v_fmamk_f32 v93, v71, 0xbf7ba420, v98
	v_fma_f32 v97, 0xbf7ba420, v73, -v102
	v_sub_f32_e32 v138, v33, v19
	v_fma_f32 v83, 0xbf1a4643, v73, -v78
	v_add_f32_e32 v84, v80, v84
	v_fmamk_f32 v80, v71, 0xbe8c1d8e, v82
	v_add_f32_e32 v88, v93, v88
	v_add_f32_e32 v97, v97, v76
	v_mul_f32_e32 v93, 0x3f763a35, v133
	v_add_f32_e32 v76, v18, v32
	v_mul_f32_e32 v101, 0xbf7ee86f, v138
	v_sub_f32_e32 v139, v32, v18
	v_add_f32_e32 v85, v83, v85
	v_add_f32_e32 v95, v80, v95
	v_mul_f32_e32 v118, 0x3f2c7751, v131
	v_fma_f32 v83, 0xbe8c1d8e, v73, -v93
	v_add_f32_e32 v80, v19, v33
	v_fmamk_f32 v100, v76, 0x3dbcf732, v101
	v_mul_f32_e32 v103, 0xbf7ee86f, v139
	v_fmamk_f32 v99, v71, 0x3f3d2fb0, v118
	v_add_f32_e32 v105, v83, v90
	v_mul_f32_e32 v83, 0xbe3c28d5, v138
	v_add_f32_e32 v100, v100, v94
	v_fma_f32 v94, 0x3dbcf732, v80, -v103
	v_mul_f32_e32 v90, 0xbe3c28d5, v139
	v_mul_f32_e32 v114, 0x3f763a35, v139
	v_add_f32_e32 v96, v99, v96
	v_fmamk_f32 v99, v76, 0xbf7ba420, v83
	v_mul_f32_e32 v109, 0x3f763a35, v138
	v_add_f32_e32 v106, v94, v86
	v_fma_f32 v86, 0xbf7ba420, v80, -v90
	v_fma_f32 v110, 0xbe8c1d8e, v80, -v114
	v_sub_f32_e32 v145, v35, v17
	v_add_f32_e32 v84, v99, v84
	v_fmamk_f32 v108, v76, 0xbe8c1d8e, v109
	v_mul_f32_e32 v94, 0x3eb8f4ab, v138
	v_add_f32_e32 v85, v86, v85
	v_mul_f32_e32 v99, 0x3eb8f4ab, v139
	v_add_f32_e32 v97, v110, v97
	v_sub_f32_e32 v147, v34, v16
	v_add_f32_e32 v86, v16, v34
	v_mul_f32_e32 v110, 0xbf763a35, v145
	v_add_f32_e32 v111, v108, v88
	v_fmamk_f32 v108, v76, 0x3f6eb680, v94
	v_fma_f32 v125, 0x3f6eb680, v80, -v99
	v_mul_f32_e32 v132, 0xbf65296c, v138
	v_add_f32_e32 v88, v17, v35
	v_mul_f32_e32 v112, 0xbf763a35, v147
	v_fmamk_f32 v128, v86, 0xbe8c1d8e, v110
	v_add_f32_e32 v127, v108, v95
	v_fmamk_f32 v108, v76, 0x3ee437d1, v132
	v_add_f32_e32 v136, v125, v105
	v_fma_f32 v105, 0xbe8c1d8e, v88, -v112
	v_mul_f32_e32 v95, 0x3f06c442, v145
	v_add_f32_e32 v141, v128, v100
	v_mul_f32_e32 v100, 0x3f06c442, v147
	v_add_f32_e32 v140, v108, v96
	v_add_f32_e32 v142, v105, v106
	v_fmamk_f32 v96, v86, 0xbf59a7d5, v95
	v_mul_f32_e32 v125, 0x3f2c7751, v145
	v_mul_f32_e32 v130, 0x3f2c7751, v147
	v_fma_f32 v106, 0xbf59a7d5, v88, -v100
	v_mul_f32_e32 v105, 0xbf65296c, v145
	v_add_f32_e32 v143, v96, v84
	v_fmamk_f32 v84, v86, 0x3f3d2fb0, v125
	v_fma_f32 v96, 0x3f3d2fb0, v88, -v130
	v_add_f32_e32 v85, v106, v85
	v_fmamk_f32 v106, v86, 0x3ee437d1, v105
	v_mul_f32_e32 v108, 0xbf65296c, v147
	v_sub_f32_e32 v153, v41, v27
	v_add_f32_e32 v144, v84, v111
	v_add_f32_e32 v146, v96, v97
	;; [unrolled: 1-line block ×3, first 2 shown]
	v_fma_f32 v84, 0x3ee437d1, v88, -v108
	v_add_f32_e32 v96, v26, v40
	v_mul_f32_e32 v127, 0xbf4c4adb, v153
	v_mul_f32_e32 v137, 0xbe3c28d5, v145
	v_sub_f32_e32 v154, v40, v26
	v_add_f32_e32 v150, v84, v136
	v_mul_f32_e32 v106, 0x3f763a35, v153
	v_fmamk_f32 v84, v96, 0xbf1a4643, v127
	v_mul_lo_u16 v151, v205, 17
	v_fmamk_f32 v111, v86, 0xbf7ba420, v137
	v_add_f32_e32 v97, v27, v41
	v_mul_f32_e32 v128, 0xbf4c4adb, v154
	v_add_f32_e32 v141, v84, v141
	v_mov_b32_e32 v84, 3
	v_fmamk_f32 v149, v96, 0xbe8c1d8e, v106
	v_sub_f32_e32 v161, v43, v25
	v_add_f32_e32 v155, v111, v140
	v_fma_f32 v140, 0xbf1a4643, v97, -v128
	v_lshlrev_b32_sdwa v226, v84, v151 dst_sel:DWORD dst_unused:UNUSED_PAD src0_sel:DWORD src1_sel:WORD_0
	v_mul_f32_e32 v111, 0x3f763a35, v154
	v_mul_f32_e32 v136, 0xbeb8f4ab, v153
	v_add_f32_e32 v160, v149, v143
	s_barrier
	buffer_gl0_inv
	ds_write2_b64 v226, v[62:63], v[0:1] offset1:1
	v_mul_f32_e32 v143, 0xbf06c442, v154
	v_add_f32_e32 v62, v24, v42
	v_mul_f32_e32 v149, 0xbf06c442, v161
	v_add_f32_e32 v156, v140, v142
	v_fma_f32 v140, 0xbe8c1d8e, v97, -v111
	v_fmamk_f32 v142, v96, 0x3f6eb680, v136
	ds_write2_b64 v226, v[2:3], v[6:7] offset0:2 offset1:3
	v_fma_f32 v2, 0xbf59a7d5, v97, -v143
	v_mul_f32_e32 v159, 0x3f7ee86f, v153
	v_sub_f32_e32 v163, v42, v24
	v_fmamk_f32 v6, v62, 0xbf59a7d5, v149
	v_mul_f32_e32 v157, 0xbf7ee86f, v161
	v_add_f32_e32 v85, v140, v85
	v_mul_f32_e32 v152, 0xbeb8f4ab, v154
	v_add_f32_e32 v144, v142, v144
	v_mul_f32_e32 v140, 0xbf06c442, v153
	v_fmamk_f32 v3, v96, 0x3dbcf732, v159
	v_add_f32_e32 v63, v25, v43
	v_mul_f32_e32 v151, 0xbf06c442, v163
	v_add_f32_e32 v7, v2, v150
	v_add_f32_e32 v2, v6, v141
	v_mul_f32_e32 v141, 0x3f65296c, v161
	v_fmamk_f32 v6, v62, 0x3dbcf732, v157
	v_sub_f32_e32 v171, v29, v31
	v_fma_f32 v0, 0x3f6eb680, v97, -v152
	v_fmamk_f32 v1, v96, 0xbf59a7d5, v140
	v_add_f32_e32 v162, v3, v155
	ds_write2_b64 v226, v[4:5], v[10:11] offset0:4 offset1:5
	v_fma_f32 v3, 0xbf59a7d5, v63, -v151
	v_mul_f32_e32 v142, 0x3f65296c, v163
	ds_write2_b64 v226, v[8:9], v[60:61] offset0:6 offset1:7
	v_mul_f32_e32 v158, 0xbf7ee86f, v163
	v_fmamk_f32 v4, v62, 0x3ee437d1, v141
	v_add_f32_e32 v6, v6, v144
	v_sub_f32_e32 v172, v28, v30
	v_add_f32_e32 v60, v30, v28
	v_mul_f32_e32 v155, 0xbe3c28d5, v171
	v_mul_f32_e32 v144, 0x3eb8f4ab, v171
	v_add_f32_e32 v0, v0, v146
	v_add_f32_e32 v1, v1, v148
	;; [unrolled: 1-line block ×3, first 2 shown]
	v_fma_f32 v5, 0x3ee437d1, v63, -v142
	v_fma_f32 v8, 0x3dbcf732, v63, -v158
	v_add_f32_e32 v4, v4, v160
	v_mul_f32_e32 v148, 0x3f4c4adb, v161
	v_add_f32_e32 v61, v31, v29
	v_mul_f32_e32 v156, 0xbe3c28d5, v172
	v_mul_f32_e32 v146, 0x3eb8f4ab, v172
	v_fmamk_f32 v9, v60, 0xbf7ba420, v155
	v_fmamk_f32 v11, v60, 0x3f6eb680, v144
	v_mul_f32_e32 v240, 0xbf763a35, v119
	v_add_f32_e32 v5, v5, v85
	v_add_f32_e32 v8, v8, v0
	v_mul_f32_e32 v150, 0x3f4c4adb, v163
	v_fmamk_f32 v0, v62, 0xbf1a4643, v148
	ds_write2_b64 v226, v[58:59], v[66:67] offset0:8 offset1:9
	v_fma_f32 v10, 0xbf7ba420, v61, -v156
	v_fma_f32 v58, 0x3f6eb680, v61, -v146
	v_add_f32_e32 v221, v9, v2
	v_add_f32_e32 v2, v11, v4
	v_fma_f32 v4, 0xbe8c1d8e, v116, -v240
	v_mul_f32_e32 v164, 0x3f06c442, v121
	v_add_f32_e32 v222, v10, v3
	v_add_f32_e32 v3, v58, v5
	v_fma_f32 v5, 0xbf1a4643, v63, -v150
	v_mul_f32_e32 v66, 0xbf06c442, v171
	;; [unrolled: 4-line block ×3, first 2 shown]
	v_add_f32_e32 v5, v5, v7
	v_fmamk_f32 v7, v60, 0xbf59a7d5, v66
	v_mul_f32_e32 v166, 0xbf65296c, v139
	v_add_f32_e32 v1, v1, v0
	v_fma_f32 v10, 0x3f3d2fb0, v73, -v165
	v_mul_f32_e32 v160, 0xbf06c442, v172
	v_add_f32_e32 v0, v7, v6
	v_fma_f32 v6, 0x3ee437d1, v80, -v166
	v_mul_f32_e32 v167, 0xbe3c28d5, v147
	v_add_f32_e32 v1, v10, v1
	v_mul_f32_e32 v59, 0x3f2c7751, v172
	v_fma_f32 v7, 0xbf59a7d5, v61, -v160
	v_mul_f32_e32 v225, 0xbf4c4adb, v119
	v_mul_f32_e32 v229, 0x3f763a35, v121
	v_add_f32_e32 v1, v6, v1
	v_fma_f32 v6, 0xbf7ba420, v88, -v167
	v_fma_f32 v11, 0x3f3d2fb0, v61, -v59
	v_mul_f32_e32 v232, 0xbeb8f4ab, v133
	v_fma_f32 v174, 0xbe8c1d8e, v69, -v229
	v_mul_f32_e32 v67, 0xbeb8f4ab, v161
	v_add_f32_e32 v85, v6, v1
	v_add_f32_e32 v1, v7, v8
	;; [unrolled: 1-line block ×3, first 2 shown]
	v_fma_f32 v11, 0xbf1a4643, v116, -v225
	v_mul_f32_e32 v234, 0xbf06c442, v139
	v_fmamk_f32 v4, v62, 0x3f6eb680, v67
	v_mul_f32_e32 v58, 0x3f2c7751, v171
	v_mul_f32_e32 v168, 0x3f7ee86f, v154
	v_add_f32_e32 v11, v11, v21
	v_mul_f32_e32 v235, 0x3f7ee86f, v147
	v_add_f32_e32 v4, v4, v162
	v_fmamk_f32 v10, v60, 0x3f3d2fb0, v58
	v_mul_f32_e32 v162, 0xbf4c4adb, v171
	v_add_f32_e32 v11, v174, v11
	v_fma_f32 v174, 0x3f6eb680, v73, -v232
	v_fma_f32 v170, 0x3dbcf732, v97, -v168
	v_mul_f32_e32 v169, 0xbeb8f4ab, v163
	v_mul_f32_e32 v237, 0xbf2c7751, v154
	v_add_f32_e32 v6, v10, v9
	v_add_f32_e32 v11, v174, v11
	v_fma_f32 v174, 0xbf59a7d5, v80, -v234
	v_add_f32_e32 v5, v170, v85
	v_fma_f32 v8, 0x3f6eb680, v63, -v169
	v_mul_f32_e32 v251, 0xbf4c4adb, v113
	v_fmamk_f32 v9, v60, 0xbf1a4643, v162
	v_add_f32_e32 v11, v174, v11
	v_fma_f32 v174, 0x3dbcf732, v88, -v235
	v_mul_f32_e32 v238, 0xbe3c28d5, v163
	v_add_f32_e32 v5, v8, v5
	v_fmamk_f32 v8, v107, 0xbf1a4643, v251
	v_mul_f32_e32 v173, 0x3f763a35, v115
	v_add_f32_e32 v11, v174, v11
	v_fma_f32 v174, 0x3f3d2fb0, v97, -v237
	v_add_f32_e32 v4, v9, v4
	v_mul_f32_e32 v176, 0xbf06c442, v113
	v_mul_f32_e32 v177, 0xbf06c442, v119
	v_add_f32_e32 v8, v8, v20
	v_add_f32_e32 v9, v174, v11
	v_fma_f32 v11, 0xbf7ba420, v63, -v238
	v_fmamk_f32 v85, v68, 0xbe8c1d8e, v173
	v_mul_f32_e32 v227, 0xbeb8f4ab, v131
	v_mul_f32_e32 v241, 0x3f65296c, v115
	v_fma_f32 v174, 0xbf59a7d5, v116, -v177
	v_add_f32_e32 v9, v11, v9
	v_fmamk_f32 v11, v107, 0xbf59a7d5, v176
	v_mul_f32_e32 v247, 0x3f65296c, v121
	v_add_f32_e32 v8, v85, v8
	v_fmamk_f32 v85, v71, 0x3f6eb680, v227
	v_mul_f32_e32 v228, 0xbf06c442, v138
	;; [unrolled: 3-line block ×3, first 2 shown]
	v_add_f32_e32 v174, v174, v21
	v_fma_f32 v180, 0x3ee437d1, v69, -v247
	v_mul_f32_e32 v249, 0xbf7ee86f, v133
	v_add_f32_e32 v8, v85, v8
	v_fmamk_f32 v85, v76, 0xbf59a7d5, v228
	v_mul_f32_e32 v230, 0x3f7ee86f, v145
	v_add_f32_e32 v11, v175, v11
	v_fmamk_f32 v175, v71, 0x3dbcf732, v242
	v_mul_f32_e32 v243, 0x3f4c4adb, v138
	v_add_f32_e32 v174, v180, v174
	v_fma_f32 v180, 0x3dbcf732, v73, -v249
	v_mul_f32_e32 v252, 0x3f4c4adb, v139
	v_add_f32_e32 v8, v85, v8
	v_fmamk_f32 v85, v86, 0x3dbcf732, v230
	v_mul_f32_e32 v231, 0xbf2c7751, v153
	v_add_f32_e32 v11, v175, v11
	v_fmamk_f32 v175, v76, 0xbf1a4643, v243
	v_mul_f32_e32 v244, 0xbeb8f4ab, v145
	v_add_f32_e32 v174, v180, v174
	v_fma_f32 v180, 0xbf1a4643, v80, -v252
	v_mul_f32_e32 v255, 0xbeb8f4ab, v147
	v_mul_f32_e32 v170, 0xbf4c4adb, v172
	v_add_f32_e32 v8, v85, v8
	v_fmamk_f32 v85, v96, 0x3f3d2fb0, v231
	v_mul_f32_e32 v233, 0xbe3c28d5, v161
	v_add_f32_e32 v11, v175, v11
	v_fmamk_f32 v175, v86, 0x3f6eb680, v244
	v_mul_f32_e32 v245, 0xbe3c28d5, v153
	v_add_f32_e32 v174, v180, v174
	v_fma_f32 v180, 0x3f6eb680, v88, -v255
	v_mul_f32_e32 v254, 0xbe3c28d5, v154
	v_fma_f32 v10, 0xbf1a4643, v61, -v170
	v_add_f32_e32 v8, v85, v8
	v_fmamk_f32 v85, v62, 0xbf7ba420, v233
	v_mul_f32_e32 v236, 0x3f65296c, v171
	v_mul_f32_e32 v239, 0x3f65296c, v172
	v_add_f32_e32 v11, v175, v11
	v_fmamk_f32 v175, v96, 0xbf7ba420, v245
	v_mul_f32_e32 v246, 0x3f2c7751, v161
	v_add_f32_e32 v174, v180, v174
	v_fma_f32 v180, 0xbf7ba420, v97, -v254
	v_mul_f32_e32 v253, 0x3f2c7751, v163
	v_add_f32_e32 v5, v10, v5
	v_add_f32_e32 v8, v85, v8
	v_fmamk_f32 v10, v60, 0x3ee437d1, v236
	v_fma_f32 v85, 0x3ee437d1, v61, -v239
	v_add_f32_e32 v11, v175, v11
	v_fmamk_f32 v175, v62, 0x3f3d2fb0, v246
	v_mul_f32_e32 v248, 0xbf763a35, v171
	v_add_f32_e32 v174, v180, v174
	v_fma_f32 v180, 0x3f3d2fb0, v63, -v253
	v_mul_f32_e32 v250, 0xbf763a35, v172
	v_add_f32_e32 v10, v10, v8
	v_add_f32_e32 v8, v175, v11
	v_fmamk_f32 v175, v60, 0xbe8c1d8e, v248
	v_add_f32_e32 v174, v180, v174
	v_fma_f32 v180, 0xbe8c1d8e, v61, -v250
	v_add_f32_e32 v11, v85, v9
	v_add_co_u32 v85, s0, v205, 51
	v_add_f32_e32 v8, v175, v8
	v_add_f32_e32 v9, v180, v174
	v_add_co_ci_u32_e64 v174, null, 0, 0, s0
	v_mul_u32_u24_e32 v220, 17, v85
	ds_write2_b64 v226, v[56:57], v[54:55] offset0:10 offset1:11
	ds_write2_b64 v226, v[52:53], v[50:51] offset0:12 offset1:13
	;; [unrolled: 1-line block ×3, first 2 shown]
	ds_write_b64 v226, v[44:45] offset:128
	s_and_saveexec_b32 s0, vcc_lo
	s_cbranch_execz .LBB0_7
; %bb.6:
	v_add_f32_e32 v23, v23, v21
	v_add_f32_e32 v22, v22, v20
	v_mul_f32_e32 v44, 0xbe3c28d5, v113
	v_mul_f32_e32 v48, 0x3eb8f4ab, v121
	;; [unrolled: 1-line block ×3, first 2 shown]
	v_add_f32_e32 v23, v37, v23
	v_add_f32_e32 v22, v36, v22
	v_mul_f32_e32 v37, 0x3ee437d1, v107
	v_fma_f32 v45, 0xbf7ba420, v107, -v44
	v_fmac_f32_e32 v44, 0xbf7ba420, v107
	v_add_f32_e32 v23, v39, v23
	v_add_f32_e32 v22, v38, v22
	v_mul_f32_e32 v39, 0x3f3d2fb0, v107
	v_sub_f32_e32 v37, v37, v124
	v_mul_f32_e32 v36, 0x3ee437d1, v116
	v_add_f32_e32 v23, v33, v23
	v_add_f32_e32 v22, v32, v22
	v_mul_f32_e32 v33, 0xbe8c1d8e, v107
	v_sub_f32_e32 v39, v39, v122
	v_mul_f32_e32 v32, 0xbe8c1d8e, v116
	;; [unrolled: 5-line block ×4, first 2 shown]
	v_add_f32_e32 v23, v43, v23
	v_add_f32_e32 v22, v42, v22
	v_sub_f32_e32 v41, v41, v117
	v_mul_f32_e32 v42, 0xbe3c28d5, v119
	v_mul_f32_e32 v40, 0x3f6eb680, v116
	v_add_f32_e32 v23, v29, v23
	v_mul_f32_e32 v29, 0xbf59a7d5, v107
	v_add_f32_e32 v22, v28, v22
	v_mul_f32_e32 v28, 0xbf59a7d5, v116
	v_fmamk_f32 v43, v116, 0xbf7ba420, v42
	v_add_f32_e32 v23, v31, v23
	v_mul_f32_e32 v31, 0xbf1a4643, v107
	v_sub_f32_e32 v29, v29, v176
	v_add_f32_e32 v22, v30, v22
	v_mul_f32_e32 v30, 0xbf1a4643, v116
	v_add_f32_e32 v45, v45, v20
	v_sub_f32_e32 v31, v31, v251
	v_add_f32_e32 v29, v29, v20
	v_add_f32_e32 v33, v33, v20
	;; [unrolled: 1-line block ×16, first 2 shown]
	v_fma_f32 v42, 0xbf7ba420, v116, -v42
	v_add_f32_e32 v43, v43, v21
	v_add_f32_e32 v46, v27, v20
	v_fmamk_f32 v20, v69, 0x3f6eb680, v48
	v_add_f32_e32 v28, v28, v21
	v_add_f32_e32 v30, v30, v21
	;; [unrolled: 1-line block ×10, first 2 shown]
	v_mul_f32_e32 v43, 0xbf06c442, v133
	v_mul_f32_e32 v50, 0x3eb8f4ab, v115
	;; [unrolled: 1-line block ×3, first 2 shown]
	v_add_f32_e32 v47, v26, v21
	v_mul_f32_e32 v52, 0x3f65296c, v154
	v_fmamk_f32 v21, v73, 0xbf59a7d5, v43
	v_mul_f32_e32 v53, 0x3f2c7751, v138
	v_mul_f32_e32 v54, 0xbf4c4adb, v145
	;; [unrolled: 1-line block ×4, first 2 shown]
	v_add_f32_e32 v20, v21, v20
	v_fmamk_f32 v21, v80, 0x3f3d2fb0, v49
	v_mul_f32_e32 v57, 0xbf763a35, v161
	v_mul_f32_e32 v107, 0x3f7ee86f, v172
	;; [unrolled: 1-line block ×4, first 2 shown]
	v_add_f32_e32 v20, v21, v20
	v_fma_f32 v21, 0x3f6eb680, v68, -v50
	v_mul_f32_e32 v24, 0x3ee437d1, v68
	v_mul_f32_e32 v25, 0xbf7ba420, v97
	v_add_f32_e32 v23, v249, v23
	v_mul_f32_e32 v27, 0x3f3d2fb0, v97
	v_add_f32_e32 v21, v21, v45
	v_mul_f32_e32 v45, 0xbf4c4adb, v147
	v_sub_f32_e32 v24, v24, v241
	v_add_f32_e32 v25, v254, v25
	v_add_f32_e32 v27, v237, v27
	v_fmac_f32_e32 v50, 0x3f6eb680, v68
	v_fmamk_f32 v22, v88, 0xbf1a4643, v45
	v_add_f32_e32 v17, v17, v46
	v_add_f32_e32 v20, v22, v20
	v_fma_f32 v22, 0xbf59a7d5, v71, -v51
	v_fmac_f32_e32 v51, 0xbf59a7d5, v71
	v_add_f32_e32 v17, v19, v17
	v_add_f32_e32 v21, v22, v21
	v_fmamk_f32 v22, v97, 0x3ee437d1, v52
	v_add_f32_e32 v13, v13, v17
	v_add_f32_e32 v20, v22, v20
	v_fma_f32 v22, 0x3f3d2fb0, v76, -v53
	v_fmac_f32_e32 v53, 0x3f3d2fb0, v76
	v_add_f32_e32 v13, v15, v13
	v_fma_f32 v15, 0xbe8c1d8e, v63, -v56
	v_add_f32_e32 v21, v22, v21
	v_fma_f32 v22, 0xbf1a4643, v86, -v54
	v_fmac_f32_e32 v54, 0xbf1a4643, v86
	v_add_f32_e32 v13, v65, v13
	v_add_f32_e32 v21, v22, v21
	v_fma_f32 v22, 0x3ee437d1, v96, -v55
	v_fmac_f32_e32 v55, 0x3ee437d1, v96
	v_add_f32_e32 v21, v22, v21
	v_fmamk_f32 v22, v63, 0xbe8c1d8e, v56
	v_add_f32_e32 v20, v22, v20
	v_fma_f32 v22, 0xbe8c1d8e, v62, -v57
	v_fmac_f32_e32 v57, 0xbe8c1d8e, v62
	v_add_f32_e32 v22, v22, v21
	v_fmamk_f32 v21, v61, 0x3dbcf732, v107
	v_add_f32_e32 v21, v21, v20
	v_fma_f32 v20, 0x3dbcf732, v60, -v113
	v_fmac_f32_e32 v113, 0x3dbcf732, v60
	v_add_f32_e32 v20, v20, v22
	v_mul_f32_e32 v22, 0x3ee437d1, v69
	v_add_f32_e32 v22, v247, v22
	v_add_f32_e32 v22, v22, v28
	;; [unrolled: 1-line block ×3, first 2 shown]
	v_mul_f32_e32 v23, 0xbf1a4643, v80
	v_add_f32_e32 v23, v252, v23
	v_add_f32_e32 v22, v23, v22
	v_mul_f32_e32 v23, 0x3f6eb680, v88
	v_add_f32_e32 v23, v255, v23
	v_add_f32_e32 v22, v23, v22
	v_add_f32_e32 v23, v24, v29
	v_mul_f32_e32 v24, 0x3dbcf732, v71
	v_mul_f32_e32 v29, 0x3f3d2fb0, v71
	v_add_f32_e32 v22, v25, v22
	v_mul_f32_e32 v25, 0x3f3d2fb0, v63
	v_sub_f32_e32 v24, v24, v242
	v_sub_f32_e32 v29, v29, v118
	v_add_f32_e32 v25, v253, v25
	v_add_f32_e32 v23, v24, v23
	v_mul_f32_e32 v24, 0xbf1a4643, v76
	v_add_f32_e32 v22, v25, v22
	v_mul_f32_e32 v25, 0xbe8c1d8e, v61
	v_sub_f32_e32 v24, v24, v243
	v_add_f32_e32 v25, v250, v25
	v_add_f32_e32 v23, v24, v23
	v_mul_f32_e32 v24, 0x3f6eb680, v86
	v_sub_f32_e32 v24, v24, v244
	v_add_f32_e32 v23, v24, v23
	v_mul_f32_e32 v24, 0xbf7ba420, v96
	v_sub_f32_e32 v24, v24, v245
	;; [unrolled: 3-line block ×4, first 2 shown]
	v_add_f32_e32 v23, v25, v22
	v_mul_f32_e32 v25, 0x3f6eb680, v73
	v_add_f32_e32 v22, v26, v24
	v_mul_f32_e32 v24, 0xbe8c1d8e, v69
	;; [unrolled: 2-line block ×3, first 2 shown]
	v_add_f32_e32 v24, v229, v24
	v_sub_f32_e32 v26, v26, v173
	v_add_f32_e32 v24, v24, v30
	v_add_f32_e32 v24, v25, v24
	v_mul_f32_e32 v25, 0xbf59a7d5, v80
	v_add_f32_e32 v25, v234, v25
	v_add_f32_e32 v24, v25, v24
	v_mul_f32_e32 v25, 0x3dbcf732, v88
	v_add_f32_e32 v25, v235, v25
	v_add_f32_e32 v24, v25, v24
	;; [unrolled: 1-line block ×3, first 2 shown]
	v_mul_f32_e32 v26, 0x3f6eb680, v71
	v_mul_f32_e32 v31, 0x3f6eb680, v97
	v_add_f32_e32 v24, v27, v24
	v_mul_f32_e32 v27, 0xbf7ba420, v63
	v_sub_f32_e32 v26, v26, v227
	v_add_f32_e32 v31, v152, v31
	v_add_f32_e32 v27, v238, v27
	v_add_f32_e32 v25, v26, v25
	v_mul_f32_e32 v26, 0xbf59a7d5, v76
	v_add_f32_e32 v24, v27, v24
	v_mul_f32_e32 v27, 0x3ee437d1, v61
	v_sub_f32_e32 v26, v26, v228
	v_add_f32_e32 v27, v239, v27
	v_add_f32_e32 v25, v26, v25
	v_mul_f32_e32 v26, 0x3dbcf732, v86
	v_sub_f32_e32 v26, v26, v230
	v_add_f32_e32 v25, v26, v25
	v_mul_f32_e32 v26, 0x3f3d2fb0, v96
	v_sub_f32_e32 v26, v26, v231
	;; [unrolled: 3-line block ×4, first 2 shown]
	v_add_f32_e32 v25, v27, v24
	v_mul_f32_e32 v27, 0x3f3d2fb0, v73
	v_add_f32_e32 v24, v28, v26
	v_mul_f32_e32 v26, 0xbf59a7d5, v69
	;; [unrolled: 2-line block ×3, first 2 shown]
	v_add_f32_e32 v26, v164, v26
	v_sub_f32_e32 v28, v28, v104
	v_add_f32_e32 v26, v26, v32
	v_add_f32_e32 v28, v28, v33
	v_mul_f32_e32 v33, 0x3ee437d1, v71
	v_add_f32_e32 v26, v27, v26
	v_mul_f32_e32 v27, 0x3ee437d1, v80
	;; [unrolled: 2-line block ×3, first 2 shown]
	v_sub_f32_e32 v33, v33, v89
	v_add_f32_e32 v27, v166, v27
	v_sub_f32_e32 v29, v29, v132
	v_add_f32_e32 v26, v27, v26
	v_mul_f32_e32 v27, 0xbf7ba420, v88
	v_add_f32_e32 v28, v29, v28
	v_mul_f32_e32 v29, 0xbf7ba420, v86
	v_add_f32_e32 v27, v167, v27
	v_sub_f32_e32 v29, v29, v137
	v_add_f32_e32 v26, v27, v26
	v_mul_f32_e32 v27, 0x3dbcf732, v97
	v_add_f32_e32 v28, v29, v28
	v_mul_f32_e32 v29, 0x3dbcf732, v96
	v_add_f32_e32 v27, v168, v27
	v_sub_f32_e32 v29, v29, v159
	v_add_f32_e32 v26, v27, v26
	v_mul_f32_e32 v27, 0x3f6eb680, v63
	v_add_f32_e32 v27, v169, v27
	v_add_f32_e32 v26, v27, v26
	;; [unrolled: 1-line block ×3, first 2 shown]
	v_mul_f32_e32 v28, 0x3f6eb680, v62
	v_mul_f32_e32 v29, 0xbf1a4643, v61
	v_sub_f32_e32 v28, v28, v67
	v_add_f32_e32 v29, v170, v29
	v_add_f32_e32 v28, v28, v27
	v_mul_f32_e32 v27, 0xbf1a4643, v60
	v_sub_f32_e32 v30, v27, v162
	v_add_f32_e32 v27, v29, v26
	v_mul_f32_e32 v29, 0xbf7ba420, v73
	v_add_f32_e32 v26, v30, v28
	v_mul_f32_e32 v28, 0xbf1a4643, v69
	v_add_f32_e32 v29, v102, v29
	v_mul_f32_e32 v30, 0xbf1a4643, v68
	v_add_f32_e32 v28, v91, v28
	v_sub_f32_e32 v30, v30, v87
	v_add_f32_e32 v28, v28, v36
	v_add_f32_e32 v28, v29, v28
	v_mul_f32_e32 v29, 0xbe8c1d8e, v80
	v_add_f32_e32 v29, v114, v29
	v_add_f32_e32 v28, v29, v28
	v_mul_f32_e32 v29, 0x3f3d2fb0, v88
	v_add_f32_e32 v29, v130, v29
	v_add_f32_e32 v28, v29, v28
	;; [unrolled: 1-line block ×3, first 2 shown]
	v_mul_f32_e32 v30, 0xbf7ba420, v71
	v_mul_f32_e32 v37, 0x3dbcf732, v68
	v_add_f32_e32 v28, v31, v28
	v_mul_f32_e32 v31, 0x3dbcf732, v63
	v_sub_f32_e32 v30, v30, v98
	v_sub_f32_e32 v37, v37, v70
	v_add_f32_e32 v31, v158, v31
	v_add_f32_e32 v29, v30, v29
	v_mul_f32_e32 v30, 0xbe8c1d8e, v76
	v_add_f32_e32 v37, v37, v39
	v_mul_f32_e32 v39, 0x3f3d2fb0, v60
	;; [unrolled: 2-line block ×3, first 2 shown]
	v_sub_f32_e32 v30, v30, v109
	v_sub_f32_e32 v39, v39, v58
	v_add_f32_e32 v31, v160, v31
	v_add_f32_e32 v29, v30, v29
	v_mul_f32_e32 v30, 0x3f3d2fb0, v86
	v_sub_f32_e32 v30, v30, v125
	v_add_f32_e32 v29, v30, v29
	v_mul_f32_e32 v30, 0x3f6eb680, v96
	v_sub_f32_e32 v30, v30, v136
	;; [unrolled: 3-line block ×4, first 2 shown]
	v_add_f32_e32 v29, v31, v28
	v_mul_f32_e32 v31, 0x3f3d2fb0, v68
	v_add_f32_e32 v28, v32, v30
	v_mul_f32_e32 v30, 0x3f3d2fb0, v69
	v_mul_f32_e32 v32, 0x3ee437d1, v73
	v_sub_f32_e32 v31, v31, v79
	v_add_f32_e32 v30, v81, v30
	v_add_f32_e32 v32, v92, v32
	;; [unrolled: 1-line block ×3, first 2 shown]
	v_mul_f32_e32 v41, 0x3f6eb680, v60
	v_add_f32_e32 v30, v30, v40
	v_mul_f32_e32 v40, 0x3f6eb680, v61
	v_add_f32_e32 v31, v33, v31
	v_mul_f32_e32 v33, 0x3dbcf732, v76
	v_sub_f32_e32 v41, v41, v144
	v_add_f32_e32 v30, v32, v30
	v_mul_f32_e32 v32, 0x3dbcf732, v80
	v_add_f32_e32 v40, v146, v40
	v_sub_f32_e32 v33, v33, v101
	v_add_f32_e32 v32, v103, v32
	v_add_f32_e32 v31, v33, v31
	v_mul_f32_e32 v33, 0xbe8c1d8e, v86
	v_add_f32_e32 v30, v32, v30
	v_mul_f32_e32 v32, 0xbe8c1d8e, v88
	v_sub_f32_e32 v33, v33, v110
	v_add_f32_e32 v32, v112, v32
	v_add_f32_e32 v31, v33, v31
	v_mul_f32_e32 v33, 0xbf1a4643, v96
	v_add_f32_e32 v30, v32, v30
	v_mul_f32_e32 v32, 0xbf1a4643, v97
	;; [unrolled: 6-line block ×5, first 2 shown]
	v_mul_f32_e32 v36, 0x3f3d2fb0, v61
	v_add_f32_e32 v32, v77, v32
	v_add_f32_e32 v33, v93, v33
	;; [unrolled: 1-line block ×4, first 2 shown]
	v_mul_f32_e32 v34, 0xbf7ba420, v68
	v_add_f32_e32 v32, v33, v32
	v_sub_f32_e32 v34, v34, v74
	v_mul_f32_e32 v33, 0x3f6eb680, v80
	v_add_f32_e32 v34, v34, v35
	v_mul_f32_e32 v35, 0xbe8c1d8e, v71
	v_add_f32_e32 v33, v99, v33
	v_sub_f32_e32 v35, v35, v82
	v_add_f32_e32 v32, v33, v32
	v_mul_f32_e32 v33, 0x3ee437d1, v88
	v_add_f32_e32 v34, v35, v34
	v_mul_f32_e32 v35, 0x3f6eb680, v76
	v_add_f32_e32 v33, v108, v33
	v_sub_f32_e32 v35, v35, v94
	v_add_f32_e32 v32, v33, v32
	;; [unrolled: 6-line block ×4, first 2 shown]
	v_add_f32_e32 v33, v35, v34
	v_mul_f32_e32 v34, 0xbf1a4643, v62
	v_mul_f32_e32 v35, 0x3dbcf732, v69
	v_sub_f32_e32 v34, v34, v148
	v_add_f32_e32 v35, v72, v35
	v_add_f32_e32 v34, v34, v33
	;; [unrolled: 1-line block ×3, first 2 shown]
	v_mul_f32_e32 v35, 0xbf1a4643, v73
	v_mul_f32_e32 v38, 0xbf1a4643, v71
	v_add_f32_e32 v35, v78, v35
	v_sub_f32_e32 v38, v38, v75
	v_add_f32_e32 v33, v35, v33
	v_mul_f32_e32 v35, 0xbf7ba420, v80
	v_add_f32_e32 v37, v38, v37
	v_mul_f32_e32 v38, 0xbf7ba420, v76
	v_add_f32_e32 v35, v90, v35
	v_sub_f32_e32 v38, v38, v83
	v_add_f32_e32 v33, v35, v33
	v_mul_f32_e32 v35, 0xbf59a7d5, v88
	v_add_f32_e32 v37, v38, v37
	;; [unrolled: 6-line block ×4, first 2 shown]
	v_add_f32_e32 v35, v35, v33
	v_add_f32_e32 v33, v38, v37
	v_mul_f32_e32 v37, 0x3ee437d1, v62
	v_fma_f32 v38, 0x3f6eb680, v69, -v48
	v_sub_f32_e32 v37, v37, v141
	v_add_f32_e32 v38, v38, v42
	v_fma_f32 v42, 0xbf59a7d5, v73, -v43
	v_add_f32_e32 v43, v50, v44
	v_add_f32_e32 v37, v37, v33
	v_add_f32_e32 v33, v36, v32
	v_add_f32_e32 v38, v42, v38
	v_fma_f32 v42, 0x3f3d2fb0, v80, -v49
	v_add_f32_e32 v32, v16, v47
	v_add_f32_e32 v16, v40, v35
	;; [unrolled: 1-line block ×5, first 2 shown]
	v_fma_f32 v32, 0xbf1a4643, v88, -v45
	v_add_f32_e32 v35, v53, v35
	v_add_f32_e32 v12, v12, v18
	;; [unrolled: 1-line block ×3, first 2 shown]
	v_fma_f32 v18, 0x3ee437d1, v97, -v52
	v_add_f32_e32 v19, v54, v35
	v_add_f32_e32 v32, v39, v34
	;; [unrolled: 1-line block ×5, first 2 shown]
	v_fma_f32 v18, 0x3dbcf732, v61, -v107
	v_add_f32_e32 v12, v64, v12
	v_lshlrev_b32_e32 v19, 3, v220
	v_add_f32_e32 v14, v15, v14
	v_add_f32_e32 v17, v57, v17
	;; [unrolled: 1-line block ×5, first 2 shown]
	ds_write2_b64 v19, v[12:13], v[30:31] offset1:1
	ds_write2_b64 v19, v[15:16], v[28:29] offset0:2 offset1:3
	ds_write2_b64 v19, v[32:33], v[26:27] offset0:4 offset1:5
	;; [unrolled: 1-line block ×7, first 2 shown]
	ds_write_b64 v19, v[221:222] offset:128
.LBB0_7:
	s_or_b32 exec_lo, exec_lo, s0
	v_add_co_u32 v104, null, 0x132, v205
	v_mov_b32_e32 v13, 0xf0f1
	v_add_co_u32 v105, null, 0x165, v205
	v_add_co_u32 v112, null, 0x198, v205
	v_mul_u32_u24_sdwa v15, v104, v13 dst_sel:DWORD dst_unused:UNUSED_PAD src0_sel:WORD_0 src1_sel:DWORD
	v_and_b32_e32 v12, 0xff, v205
	v_mul_u32_u24_sdwa v16, v105, v13 dst_sel:DWORD dst_unused:UNUSED_PAD src0_sel:WORD_0 src1_sel:DWORD
	v_and_b32_e32 v14, 0xff, v85
	v_add_co_u32 v96, null, 0xff, v205
	v_lshrrev_b32_e32 v37, 20, v15
	v_mul_u32_u24_sdwa v15, v112, v13 dst_sel:DWORD dst_unused:UNUSED_PAD src0_sel:WORD_0 src1_sel:DWORD
	v_mul_lo_u16 v12, 0xf1, v12
	v_lshrrev_b32_e32 v38, 20, v16
	v_mul_lo_u16 v14, 0xf1, v14
	v_mul_lo_u16 v16, v37, 17
	v_lshrrev_b32_e32 v36, 20, v15
	v_lshrrev_b16 v58, 12, v12
	v_mul_lo_u16 v17, v38, 17
	v_mul_u32_u24_sdwa v12, v96, v13 dst_sel:DWORD dst_unused:UNUSED_PAD src0_sel:WORD_0 src1_sel:DWORD
	v_sub_nc_u16 v49, v104, v16
	v_mul_lo_u16 v13, v36, 17
	v_lshrrev_b16 v56, 12, v14
	v_sub_nc_u16 v39, v105, v17
	v_lshrrev_b32_e32 v50, 20, v12
	v_lshlrev_b16 v15, 1, v49
	v_sub_nc_u16 v48, v112, v13
	v_mul_lo_u16 v16, v56, 17
	v_lshlrev_b16 v14, 1, v39
	v_mul_lo_u16 v17, v50, 17
	v_lshlrev_b32_sdwa v12, v84, v15 dst_sel:DWORD dst_unused:UNUSED_PAD src0_sel:DWORD src1_sel:WORD_0
	v_lshlrev_b16 v18, 1, v48
	s_waitcnt lgkmcnt(0)
	s_barrier
	buffer_gl0_inv
	v_lshlrev_b32_sdwa v13, v84, v14 dst_sel:DWORD dst_unused:UNUSED_PAD src0_sel:DWORD src1_sel:WORD_0
	global_load_dwordx4 v[20:23], v12, s[4:5]
	v_mul_lo_u16 v19, v58, 17
	v_sub_nc_u16 v51, v96, v17
	v_sub_nc_u16 v16, v85, v16
	v_lshlrev_b32_sdwa v17, v84, v18 dst_sel:DWORD dst_unused:UNUSED_PAD src0_sel:DWORD src1_sel:WORD_0
	v_add_co_u32 v97, null, 0xcc, v205
	v_sub_nc_u16 v59, v205, v19
	v_and_b32_e32 v57, 0xff, v16
	s_clause 0x1
	global_load_dwordx4 v[16:19], v17, s[4:5]
	global_load_dwordx4 v[12:15], v13, s[4:5]
	v_lshlrev_b16 v24, 1, v51
	v_lshlrev_b16 v25, 1, v59
	v_and_b32_e32 v40, 0xff, v97
	v_add_nc_u32_e32 v130, 0x2000, v223
	v_lshlrev_b32_e32 v28, 4, v57
	v_lshlrev_b32_sdwa v24, v84, v24 dst_sel:DWORD dst_unused:UNUSED_PAD src0_sel:DWORD src1_sel:WORD_0
	v_and_b32_e32 v32, 0xfe, v25
	v_add_nc_u32_e32 v131, 0x1800, v223
	v_mul_lo_u16 v40, 0xf1, v40
	v_add_nc_u32_e32 v142, 0x1000, v223
	s_clause 0x1
	global_load_dwordx4 v[24:27], v24, s[4:5]
	global_load_dwordx4 v[28:31], v28, s[4:5]
	v_lshlrev_b32_e32 v32, 3, v32
	v_add_co_u32 v88, null, 0x66, v205
	v_lshrrev_b16 v83, 12, v40
	v_add_co_u32 v89, null, 0x99, v205
	global_load_dwordx4 v[32:35], v32, s[4:5]
	ds_read2_b64 v[44:47], v130 offset0:200 offset1:251
	ds_read2_b64 v[52:55], v131 offset0:48 offset1:99
	;; [unrolled: 1-line block ×3, first 2 shown]
	v_mul_lo_u16 v40, v83, 17
	ds_read2_b64 v[64:67], v131 offset0:150 offset1:201
	v_add_nc_u32_e32 v143, 0xc00, v223
	v_add_nc_u32_e32 v158, 0x1c00, v223
	v_add_nc_u32_e32 v144, 0x800, v223
	v_sub_nc_u16 v40, v97, v40
	v_mad_u16 v37, v37, 51, v49
	v_mad_u16 v39, v38, 51, v39
	v_lshlrev_b32_e32 v97, 4, v97
	v_lshlrev_b32_e32 v96, 4, v96
	v_and_b32_e32 v86, 0xff, v40
	v_lshlrev_b32_e32 v104, 4, v104
	v_lshlrev_b32_e32 v112, 4, v112
	;; [unrolled: 1-line block ×3, first 2 shown]
	global_load_dwordx4 v[40:43], v40, s[4:5]
	s_waitcnt vmcnt(6) lgkmcnt(3)
	v_mul_f32_e32 v87, v44, v23
	v_mul_f32_e32 v68, v45, v23
	s_waitcnt lgkmcnt(1)
	v_mul_f32_e32 v99, v62, v21
	v_fmac_f32_e32 v87, v45, v22
	v_mul_f32_e32 v45, v63, v21
	v_fma_f32 v91, v44, v22, -v68
	v_and_b32_e32 v68, 0xff, v88
	s_waitcnt vmcnt(5)
	v_mul_f32_e32 v44, v55, v17
	s_waitcnt vmcnt(4)
	v_mul_f32_e32 v69, v47, v15
	v_mul_f32_e32 v90, v46, v15
	v_mul_f32_e32 v70, v53, v13
	v_mul_f32_e32 v93, v52, v13
	v_fma_f32 v101, v62, v20, -v45
	v_fma_f32 v92, v46, v14, -v69
	v_fmac_f32_e32 v90, v47, v14
	v_fma_f32 v95, v52, v12, -v70
	buffer_store_dword v12, off, s[16:19], 0 offset:32 ; 4-byte Folded Spill
	buffer_store_dword v13, off, s[16:19], 0 offset:36 ; 4-byte Folded Spill
	;; [unrolled: 1-line block ×8, first 2 shown]
	v_fma_f32 v98, v54, v16, -v44
	s_waitcnt vmcnt(3)
	v_mul_f32_e32 v44, v61, v25
	v_mul_f32_e32 v100, v60, v25
	v_and_b32_e32 v45, 0xff, v89
	v_mul_f32_e32 v94, v54, v17
	s_waitcnt vmcnt(2) lgkmcnt(0)
	v_mul_f32_e32 v46, v67, v31
	v_fma_f32 v102, v60, v24, -v44
	v_fmac_f32_e32 v100, v61, v24
	s_waitcnt vmcnt(1)
	v_mul_f32_e32 v44, v65, v35
	v_mul_f32_e32 v69, v64, v35
	v_fmac_f32_e32 v94, v55, v16
	v_fma_f32 v106, v66, v30, -v46
	v_mul_f32_e32 v103, v66, v31
	v_fma_f32 v64, v64, v34, -v44
	v_mul_lo_u16 v44, 0xf1, v68
	v_fmac_f32_e32 v69, v65, v34
	v_fmac_f32_e32 v103, v67, v30
	v_lshrrev_b16 v107, 12, v44
	v_mul_lo_u16 v44, 0xf1, v45
	v_mul_lo_u16 v45, v107, 17
	v_lshrrev_b16 v108, 12, v44
	v_sub_nc_u16 v44, v88, v45
	v_mul_lo_u16 v45, v108, 17
	v_and_b32_e32 v109, 0xff, v44
	v_sub_nc_u16 v45, v89, v45
	v_and_b32_e32 v110, 0xff, v45
	v_lshlrev_b32_e32 v45, 4, v110
	v_fmac_f32_e32 v93, v53, v12
	v_fmac_f32_e32 v99, v63, v20
	ds_read2_b64 v[60:63], v143 offset0:126 offset1:177
	s_waitcnt lgkmcnt(0)
	v_mul_f32_e32 v44, v61, v29
	v_mul_f32_e32 v113, v60, v29
	v_fma_f32 v111, v60, v28, -v44
	v_lshlrev_b32_e32 v44, 4, v109
	s_clause 0x1
	global_load_dwordx4 v[52:55], v44, s[4:5]
	global_load_dwordx4 v[44:47], v45, s[4:5]
	v_fmac_f32_e32 v113, v61, v28
	s_waitcnt vmcnt(1)
	v_mul_f32_e32 v60, v63, v53
	v_mul_f32_e32 v115, v62, v53
	v_fma_f32 v114, v62, v52, -v60
	v_fmac_f32_e32 v115, v63, v52
	ds_read2_b64 v[60:63], v158 offset0:124 offset1:175
	s_waitcnt lgkmcnt(0)
	v_mul_f32_e32 v65, v61, v55
	v_mul_f32_e32 v117, v60, v55
	s_waitcnt vmcnt(0)
	v_mul_f32_e32 v119, v62, v47
	v_fma_f32 v116, v60, v54, -v65
	v_mul_f32_e32 v60, v63, v47
	v_fmac_f32_e32 v117, v61, v54
	v_fmac_f32_e32 v119, v63, v46
	v_fma_f32 v118, v62, v46, -v60
	ds_read2_b64 v[60:63], v142 offset0:100 offset1:151
	s_waitcnt lgkmcnt(0)
	v_mul_f32_e32 v65, v61, v45
	v_mul_f32_e32 v121, v60, v45
	;; [unrolled: 1-line block ×3, first 2 shown]
	v_fma_f32 v120, v60, v44, -v65
	v_mul_f32_e32 v60, v63, v41
	v_fmac_f32_e32 v121, v61, v44
	v_fmac_f32_e32 v123, v63, v40
	v_fma_f32 v122, v62, v40, -v60
	ds_read2_b64 v[60:63], v130 offset0:98 offset1:149
	s_waitcnt lgkmcnt(0)
	v_mul_f32_e32 v65, v63, v27
	v_mul_f32_e32 v125, v62, v27
	v_mul_f32_e32 v127, v60, v43
	v_fma_f32 v124, v62, v26, -v65
	v_mul_f32_e32 v62, v61, v43
	buffer_store_dword v24, off, s[16:19], 0 offset:80 ; 4-byte Folded Spill
	buffer_store_dword v25, off, s[16:19], 0 offset:84 ; 4-byte Folded Spill
	;; [unrolled: 1-line block ×4, first 2 shown]
	v_mad_u16 v65, v58, 51, v59
	v_fma_f32 v126, v60, v42, -v62
	buffer_store_dword v40, off, s[16:19], 0 offset:108 ; 4-byte Folded Spill
	buffer_store_dword v41, off, s[16:19], 0 offset:112 ; 4-byte Folded Spill
	;; [unrolled: 1-line block ×4, first 2 shown]
	v_lshlrev_b32_sdwa v210, v84, v65 dst_sel:DWORD dst_unused:UNUSED_PAD src0_sel:DWORD src1_sel:BYTE_0
	v_fmac_f32_e32 v125, v63, v26
	v_fmac_f32_e32 v127, v61, v42
	ds_read2_b64 v[58:61], v144 offset0:152 offset1:203
	s_waitcnt lgkmcnt(0)
	v_mul_f32_e32 v62, v61, v33
	v_mul_f32_e32 v67, v60, v33
	v_fma_f32 v66, v60, v32, -v62
	v_fmac_f32_e32 v67, v61, v32
	ds_read2_b64 v[60:63], v223 offset1:51
	v_sub_f32_e32 v129, v66, v64
	v_sub_f32_e32 v128, v67, v69
	s_waitcnt lgkmcnt(0)
	v_add_f32_e32 v70, v61, v67
	v_add_f32_e32 v67, v67, v69
	;; [unrolled: 1-line block ×4, first 2 shown]
	v_fma_f32 v61, -0.5, v67, v61
	v_add_f32_e32 v77, v69, v64
	v_add_f32_e32 v69, v66, v64
	v_fmamk_f32 v80, v129, 0xbf5db3d7, v61
	v_fmac_f32_e32 v61, 0x3f5db3d7, v129
	v_fma_f32 v60, -0.5, v69, v60
	ds_read_b64 v[81:82], v223 offset:10608
	ds_read2_b64 v[64:67], v223 offset0:102 offset1:153
	ds_read2_b64 v[69:72], v223 offset0:204 offset1:255
	;; [unrolled: 1-line block ×3, first 2 shown]
	s_waitcnt lgkmcnt(0)
	s_waitcnt_vscnt null, 0x0
	s_barrier
	buffer_gl0_inv
	v_fmamk_f32 v79, v128, 0x3f5db3d7, v60
	v_fmac_f32_e32 v60, 0xbf5db3d7, v128
	ds_write2_b64 v210, v[77:78], v[79:80] offset1:17
	v_add_f32_e32 v78, v113, v103
	ds_write_b64 v210, v[60:61] offset:272
	v_add_f32_e32 v60, v63, v113
	v_add_f32_e32 v79, v111, v106
	v_sub_f32_e32 v77, v113, v103
	v_fmac_f32_e32 v63, -0.5, v78
	v_mov_b32_e32 v78, 51
	v_add_f32_e32 v61, v60, v103
	v_add_f32_e32 v60, v62, v111
	v_sub_f32_e32 v80, v111, v106
	v_fma_f32 v62, -0.5, v79, v62
	v_mul_u32_u24_sdwa v56, v56, v78 dst_sel:DWORD dst_unused:UNUSED_PAD src0_sel:WORD_0 src1_sel:DWORD
	v_sub_f32_e32 v79, v114, v116
	v_add_f32_e32 v60, v60, v106
	v_add_f32_e32 v49, v74, v99
	v_add_lshl_u32 v211, v56, v57, 3
	v_fmamk_f32 v56, v77, 0x3f5db3d7, v62
	v_fmamk_f32 v57, v80, 0xbf5db3d7, v63
	v_fmac_f32_e32 v62, 0xbf5db3d7, v77
	v_fmac_f32_e32 v63, 0x3f5db3d7, v80
	v_sub_f32_e32 v77, v115, v117
	ds_write2_b64 v211, v[60:61], v[56:57] offset1:17
	v_add_f32_e32 v56, v65, v115
	v_add_f32_e32 v61, v115, v117
	;; [unrolled: 1-line block ×3, first 2 shown]
	ds_write_b64 v211, v[62:63] offset:272
	v_mul_u32_u24_sdwa v62, v107, v78 dst_sel:DWORD dst_unused:UNUSED_PAD src0_sel:WORD_0 src1_sel:DWORD
	v_add_f32_e32 v57, v56, v117
	v_add_f32_e32 v56, v64, v114
	v_fma_f32 v60, -0.5, v60, v64
	v_fma_f32 v61, -0.5, v61, v65
	v_add_lshl_u32 v224, v62, v109, 3
	v_sub_f32_e32 v64, v123, v127
	v_add_f32_e32 v56, v56, v116
	v_fmamk_f32 v62, v77, 0x3f5db3d7, v60
	v_fmamk_f32 v63, v79, 0xbf5db3d7, v61
	v_fmac_f32_e32 v60, 0xbf5db3d7, v77
	v_fmac_f32_e32 v61, 0x3f5db3d7, v79
	v_sub_f32_e32 v65, v122, v126
	ds_write2_b64 v224, v[56:57], v[62:63] offset1:17
	v_add_f32_e32 v56, v67, v121
	ds_write_b64 v224, v[60:61] offset:272
	v_add_f32_e32 v60, v121, v119
	v_add_f32_e32 v61, v120, v118
	v_sub_f32_e32 v62, v121, v119
	v_add_f32_e32 v57, v56, v119
	v_add_f32_e32 v56, v66, v120
	v_sub_f32_e32 v63, v120, v118
	v_fma_f32 v66, -0.5, v61, v66
	v_fmac_f32_e32 v67, -0.5, v60
	v_mul_u32_u24_sdwa v60, v108, v78 dst_sel:DWORD dst_unused:UNUSED_PAD src0_sel:WORD_0 src1_sel:DWORD
	v_add_f32_e32 v56, v56, v118
	v_fmamk_f32 v61, v63, 0xbf5db3d7, v67
	v_add_lshl_u32 v77, v60, v110, 3
	v_fmamk_f32 v60, v62, 0x3f5db3d7, v66
	v_fmac_f32_e32 v66, 0xbf5db3d7, v62
	v_mul_u32_u24_sdwa v62, v83, v78 dst_sel:DWORD dst_unused:UNUSED_PAD src0_sel:WORD_0 src1_sel:DWORD
	v_fmac_f32_e32 v67, 0x3f5db3d7, v63
	ds_write2_b64 v77, v[56:57], v[60:61] offset1:17
	v_add_f32_e32 v56, v70, v123
	v_add_f32_e32 v61, v123, v127
	;; [unrolled: 1-line block ×3, first 2 shown]
	v_add_lshl_u32 v236, v62, v86, 3
	ds_write_b64 v77, v[66:67] offset:272
	v_add_f32_e32 v57, v56, v127
	v_add_f32_e32 v56, v69, v122
	v_fma_f32 v60, -0.5, v60, v69
	v_fma_f32 v61, -0.5, v61, v70
	v_add_f32_e32 v56, v56, v126
	v_fmamk_f32 v62, v64, 0x3f5db3d7, v60
	v_fmamk_f32 v63, v65, 0xbf5db3d7, v61
	v_fmac_f32_e32 v60, 0xbf5db3d7, v64
	v_fmac_f32_e32 v61, 0x3f5db3d7, v65
	v_lshlrev_b32_e32 v64, 6, v205
	ds_write2_b64 v236, v[56:57], v[62:63] offset1:17
	v_mad_u16 v56, v50, 51, v51
	ds_write_b64 v236, v[60:61] offset:272
	v_add_f32_e32 v50, v72, v100
	v_add_f32_e32 v57, v100, v125
	;; [unrolled: 1-line block ×3, first 2 shown]
	v_sub_f32_e32 v60, v100, v125
	v_sub_f32_e32 v62, v102, v124
	v_add_f32_e32 v51, v50, v125
	v_add_f32_e32 v50, v71, v102
	v_fma_f32 v71, -0.5, v61, v71
	v_fmac_f32_e32 v72, -0.5, v57
	v_lshlrev_b32_sdwa v12, v84, v56 dst_sel:DWORD dst_unused:UNUSED_PAD src0_sel:DWORD src1_sel:WORD_0
	v_add_f32_e32 v50, v50, v124
	v_fmamk_f32 v56, v60, 0x3f5db3d7, v71
	v_fmamk_f32 v57, v62, 0xbf5db3d7, v72
	v_fmac_f32_e32 v71, 0xbf5db3d7, v60
	v_fmac_f32_e32 v72, 0x3f5db3d7, v62
	v_sub_f32_e32 v62, v101, v91
	buffer_store_dword v12, off, s[16:19], 0 offset:104 ; 4-byte Folded Spill
	ds_write2_b64 v12, v[50:51], v[56:57] offset1:17
	v_add_f32_e32 v57, v99, v87
	v_add_f32_e32 v56, v101, v91
	v_sub_f32_e32 v51, v99, v87
	v_add_f32_e32 v50, v49, v87
	v_add_f32_e32 v49, v73, v101
	v_fma_f32 v57, -0.5, v57, v74
	v_fma_f32 v56, -0.5, v56, v73
	ds_write_b64 v12, v[71:72] offset:272
	v_lshlrev_b32_sdwa v72, v84, v37 dst_sel:DWORD dst_unused:UNUSED_PAD src0_sel:DWORD src1_sel:WORD_0
	v_add_f32_e32 v49, v49, v91
	v_fmamk_f32 v61, v62, 0xbf5db3d7, v57
	v_fmamk_f32 v60, v51, 0x3f5db3d7, v56
	v_fmac_f32_e32 v56, 0xbf5db3d7, v51
	v_fmac_f32_e32 v57, 0x3f5db3d7, v62
	v_add_f32_e32 v37, v76, v93
	v_sub_f32_e32 v51, v93, v90
	ds_write2_b64 v72, v[49:50], v[60:61] offset1:17
	v_add_f32_e32 v49, v93, v90
	v_add_f32_e32 v50, v95, v92
	ds_write_b64 v72, v[56:57] offset:272
	v_add_f32_e32 v38, v37, v90
	v_add_f32_e32 v37, v75, v95
	v_sub_f32_e32 v56, v95, v92
	v_fma_f32 v75, -0.5, v50, v75
	v_fmac_f32_e32 v76, -0.5, v49
	v_lshlrev_b32_sdwa v73, v84, v39 dst_sel:DWORD dst_unused:UNUSED_PAD src0_sel:DWORD src1_sel:WORD_0
	v_add_f32_e32 v37, v37, v92
	v_mad_u16 v39, v36, 51, v48
	v_fmamk_f32 v49, v51, 0x3f5db3d7, v75
	v_fmamk_f32 v50, v56, 0xbf5db3d7, v76
	v_add_f32_e32 v36, v59, v94
	v_fmac_f32_e32 v75, 0xbf5db3d7, v51
	v_fmac_f32_e32 v76, 0x3f5db3d7, v56
	v_lshlrev_b32_sdwa v74, v84, v39 dst_sel:DWORD dst_unused:UNUSED_PAD src0_sel:DWORD src1_sel:WORD_0
	ds_write2_b64 v73, v[37:38], v[49:50] offset1:17
	v_mul_f32_e32 v37, v82, v19
	v_fma_f32 v38, v81, v18, -v37
	v_mul_f32_e32 v37, v81, v19
	buffer_store_dword v16, off, s[16:19], 0 offset:48 ; 4-byte Folded Spill
	buffer_store_dword v17, off, s[16:19], 0 offset:52 ; 4-byte Folded Spill
	;; [unrolled: 1-line block ×4, first 2 shown]
	v_add_f32_e32 v50, v98, v38
	v_fmac_f32_e32 v37, v82, v18
	v_add_f32_e32 v49, v94, v37
	v_sub_f32_e32 v48, v94, v37
	v_add_f32_e32 v37, v36, v37
	v_add_f32_e32 v36, v58, v98
	v_fma_f32 v58, -0.5, v50, v58
	v_sub_f32_e32 v50, v98, v38
	v_fmac_f32_e32 v59, -0.5, v49
	v_add_f32_e32 v36, v36, v38
	v_fmamk_f32 v38, v48, 0x3f5db3d7, v58
	v_fmac_f32_e32 v58, 0xbf5db3d7, v48
	v_fmamk_f32 v39, v50, 0xbf5db3d7, v59
	v_fmac_f32_e32 v59, 0x3f5db3d7, v50
	ds_write_b64 v73, v[75:76] offset:272
	ds_write2_b64 v74, v[36:37], v[38:39] offset1:17
	ds_write_b64 v74, v[58:59] offset:272
	s_waitcnt lgkmcnt(0)
	s_waitcnt_vscnt null, 0x0
	s_barrier
	buffer_gl0_inv
	s_clause 0x1
	global_load_dwordx4 v[36:39], v64, s[4:5] offset:272
	global_load_dwordx4 v[56:59], v64, s[4:5] offset:288
	ds_read2_b64 v[48:51], v144 offset0:50 offset1:101
	s_waitcnt vmcnt(1) lgkmcnt(0)
	v_mul_f32_e32 v60, v49, v39
	v_mul_f32_e32 v136, v48, v39
	;; [unrolled: 1-line block ×3, first 2 shown]
	v_fma_f32 v129, v48, v38, -v60
	v_mul_f32_e32 v48, v51, v39
	v_fmac_f32_e32 v136, v49, v38
	v_fmac_f32_e32 v101, v51, v38
	v_fma_f32 v100, v50, v38, -v48
	ds_read2_b64 v[48:51], v142 offset0:100 offset1:151
	s_waitcnt vmcnt(0) lgkmcnt(0)
	v_mul_f32_e32 v60, v49, v59
	v_mul_f32_e32 v115, v48, v59
	;; [unrolled: 1-line block ×3, first 2 shown]
	v_fma_f32 v114, v48, v58, -v60
	s_clause 0x1
	global_load_dwordx4 v[60:63], v64, s[4:5] offset:304
	global_load_dwordx4 v[64:67], v64, s[4:5] offset:320
	v_mul_f32_e32 v48, v51, v59
	v_fmac_f32_e32 v115, v49, v58
	v_fmac_f32_e32 v102, v51, v58
	v_fma_f32 v103, v50, v58, -v48
	ds_read2_b64 v[48:51], v131 offset0:150 offset1:201
	s_waitcnt vmcnt(1) lgkmcnt(0)
	v_mul_f32_e32 v69, v49, v63
	v_mul_f32_e32 v140, v48, v63
	;; [unrolled: 1-line block ×3, first 2 shown]
	v_fma_f32 v137, v48, v62, -v69
	v_mul_f32_e32 v48, v51, v63
	v_fmac_f32_e32 v140, v49, v62
	v_fmac_f32_e32 v110, v51, v62
	v_fma_f32 v109, v50, v62, -v48
	ds_read2_b64 v[48:51], v130 offset0:200 offset1:251
	s_waitcnt vmcnt(0) lgkmcnt(0)
	v_mul_f32_e32 v69, v49, v67
	v_mul_f32_e32 v133, v48, v67
	;; [unrolled: 1-line block ×3, first 2 shown]
	v_fma_f32 v132, v48, v66, -v69
	v_mul_f32_e32 v48, v51, v67
	v_fmac_f32_e32 v133, v49, v66
	v_fmac_f32_e32 v117, v51, v66
	v_fma_f32 v116, v50, v66, -v48
	v_mul_lo_u16 v48, 0xa1, v68
	v_lshrrev_b16 v48, 13, v48
	v_mul_lo_u16 v48, v48, 51
	v_sub_nc_u16 v90, v88, v48
	v_mov_b32_e32 v48, 6
	v_lshlrev_b32_e32 v88, 4, v88
	v_lshlrev_b32_sdwa v82, v48, v90 dst_sel:DWORD dst_unused:UNUSED_PAD src0_sel:DWORD src1_sel:BYTE_0
	ds_read2_b64 v[48:51], v223 offset0:204 offset1:255
	s_clause 0x1
	global_load_dwordx4 v[12:15], v82, s[4:5] offset:272
	global_load_dwordx4 v[16:19], v82, s[4:5] offset:288
	s_waitcnt lgkmcnt(0)
	v_mul_f32_e32 v68, v49, v37
	v_mul_f32_e32 v119, v48, v37
	v_fma_f32 v118, v48, v36, -v68
	v_fmac_f32_e32 v119, v49, v36
	s_waitcnt vmcnt(1)
	v_mul_f32_e32 v48, v51, v13
	v_mul_f32_e32 v91, v50, v13
	v_fma_f32 v92, v50, v12, -v48
	v_fmac_f32_e32 v91, v51, v12
	ds_read2_b64 v[48:51], v144 offset0:152 offset1:203
	s_waitcnt lgkmcnt(0)
	v_mul_f32_e32 v76, v51, v57
	v_mul_f32_e32 v145, v50, v57
	;; [unrolled: 1-line block ×3, first 2 shown]
	v_fma_f32 v141, v50, v56, -v76
	v_mul_f32_e32 v50, v49, v15
	v_fmac_f32_e32 v145, v51, v56
	v_fma_f32 v94, v48, v14, -v50
	buffer_store_dword v12, off, s[16:19], 0 offset:140 ; 4-byte Folded Spill
	buffer_store_dword v13, off, s[16:19], 0 offset:144 ; 4-byte Folded Spill
	;; [unrolled: 1-line block ×4, first 2 shown]
	v_fmac_f32_e32 v93, v49, v14
	ds_read2_b64 v[48:51], v143 offset0:126 offset1:177
	s_waitcnt lgkmcnt(0)
	v_mul_f32_e32 v76, v49, v57
	v_mul_f32_e32 v121, v48, v57
	s_waitcnt vmcnt(0)
	v_mul_f32_e32 v95, v50, v17
	v_fma_f32 v120, v48, v56, -v76
	v_mul_f32_e32 v48, v51, v17
	v_fmac_f32_e32 v121, v49, v56
	v_fmac_f32_e32 v95, v51, v16
	v_fma_f32 v98, v50, v16, -v48
	ds_read2_b64 v[48:51], v142 offset0:202 offset1:253
	s_waitcnt lgkmcnt(0)
	v_mul_f32_e32 v76, v51, v61
	v_mul_f32_e32 v125, v50, v61
	;; [unrolled: 1-line block ×3, first 2 shown]
	v_fma_f32 v124, v50, v60, -v76
	v_mul_f32_e32 v50, v49, v19
	v_fmac_f32_e32 v125, v51, v60
	v_add_f32_e32 v159, v114, v124
	v_fma_f32 v86, v48, v18, -v50
	buffer_store_dword v16, off, s[16:19], 0 offset:156 ; 4-byte Folded Spill
	buffer_store_dword v17, off, s[16:19], 0 offset:160 ; 4-byte Folded Spill
	;; [unrolled: 1-line block ×4, first 2 shown]
	ds_read2_b64 v[78:81], v131 offset0:48 offset1:99
	v_sub_f32_e32 v157, v115, v125
	v_add_f32_e32 v160, v115, v125
	v_mul_f32_e32 v163, 0xbf248dbb, v157
	s_waitcnt lgkmcnt(0)
	v_mul_f32_e32 v48, v79, v61
	v_mul_f32_e32 v122, v78, v61
	v_fma_f32 v123, v78, v60, -v48
	v_fmac_f32_e32 v122, v79, v60
	v_lshlrev_b32_sdwa v79, v84, v90 dst_sel:DWORD dst_unused:UNUSED_PAD src0_sel:DWORD src1_sel:BYTE_0
	v_fmac_f32_e32 v99, v49, v18
	s_clause 0x1
	global_load_dwordx4 v[16:19], v82, s[4:5] offset:304
	global_load_dwordx4 v[12:15], v82, s[4:5] offset:320
	s_waitcnt vmcnt(1)
	v_mul_f32_e32 v82, v81, v17
	v_mul_f32_e32 v106, v80, v17
	v_fma_f32 v87, v80, v16, -v82
	v_fmac_f32_e32 v106, v81, v16
	ds_read2_b64 v[80:83], v158 offset0:124 offset1:175
	s_waitcnt lgkmcnt(0)
	v_mul_f32_e32 v107, v83, v65
	v_mul_f32_e32 v139, v82, v65
	v_fma_f32 v138, v82, v64, -v107
	v_mul_f32_e32 v82, v81, v19
	v_mul_f32_e32 v107, v80, v19
	v_fmac_f32_e32 v139, v83, v64
	v_fma_f32 v108, v80, v18, -v82
	buffer_store_dword v16, off, s[16:19], 0 offset:172 ; 4-byte Folded Spill
	buffer_store_dword v17, off, s[16:19], 0 offset:176 ; 4-byte Folded Spill
	buffer_store_dword v18, off, s[16:19], 0 offset:180 ; 4-byte Folded Spill
	buffer_store_dword v19, off, s[16:19], 0 offset:184 ; 4-byte Folded Spill
	ds_read_b64 v[153:154], v223 offset:10608
	v_fmac_f32_e32 v107, v81, v18
	ds_read2_b64 v[80:83], v130 offset0:98 offset1:149
	s_waitcnt lgkmcnt(0)
	v_mul_f32_e32 v111, v81, v65
	v_mul_f32_e32 v127, v80, v65
	v_fma_f32 v126, v80, v64, -v111
	s_waitcnt vmcnt(0)
	v_mul_f32_e32 v80, v83, v13
	v_mul_f32_e32 v111, v82, v13
	v_fmac_f32_e32 v127, v81, v64
	v_fma_f32 v113, v82, v12, -v80
	v_fmac_f32_e32 v111, v83, v12
	ds_read2_b64 v[80:83], v223 offset0:102 offset1:153
	s_waitcnt lgkmcnt(0)
	v_mul_f32_e32 v128, v83, v37
	v_fma_f32 v134, v82, v36, -v128
	v_add_f32_e32 v128, v134, v132
	v_sub_f32_e32 v134, v134, v132
	v_mul_f32_e32 v132, v82, v37
	v_fmac_f32_e32 v132, v83, v36
	v_add_f32_e32 v83, v141, v137
	v_add_f32_e32 v82, v132, v133
	v_sub_f32_e32 v135, v132, v133
	v_add_f32_e32 v132, v129, v138
	v_sub_f32_e32 v138, v129, v138
	;; [unrolled: 2-line block ×3, first 2 shown]
	v_sub_f32_e32 v136, v141, v137
	v_add_f32_e32 v129, v145, v140
	v_sub_f32_e32 v137, v145, v140
	v_mul_f32_e32 v145, 0x3f7c1c5c, v157
	v_sub_f32_e32 v140, v114, v124
	v_add_f32_e32 v161, v133, v82
	v_fmac_f32_e32 v163, 0x3f7c1c5c, v135
	v_add_f32_e32 v155, v157, v135
	v_fma_f32 v151, 0xbf248dbb, v139, -v145
	ds_read2_b64 v[145:148], v223 offset1:51
	v_mul_f32_e32 v141, 0x3f7c1c5c, v140
	s_waitcnt lgkmcnt(0)
	s_waitcnt_vscnt null, 0x0
	s_barrier
	v_fmac_f32_e32 v151, 0x3f5db3d7, v137
	buffer_gl0_inv
	v_fma_f32 v141, 0xbf248dbb, v138, -v141
	v_mul_f32_e32 v162, 0xbf248dbb, v140
	v_add_f32_e32 v156, v140, v134
	v_fmac_f32_e32 v151, 0x3eaf1d44, v135
	v_mul_f32_e32 v135, 0x3f248dbb, v135
	v_fmac_f32_e32 v141, 0x3f5db3d7, v136
	v_fmac_f32_e32 v162, 0x3f7c1c5c, v134
	;; [unrolled: 1-line block ×3, first 2 shown]
	v_sub_f32_e32 v155, v155, v139
	v_fmac_f32_e32 v135, 0x3f7c1c5c, v139
	v_fmac_f32_e32 v141, 0x3eaf1d44, v134
	v_mul_f32_e32 v134, 0x3f248dbb, v134
	v_fmac_f32_e32 v162, 0xbf5db3d7, v136
	v_fmac_f32_e32 v163, 0x3eaf1d44, v139
	v_fmamk_f32 v149, v132, 0x3f441b7d, v145
	v_fmamk_f32 v150, v133, 0x3f441b7d, v146
	v_fmac_f32_e32 v134, 0x3f7c1c5c, v138
	v_fmac_f32_e32 v135, 0x3f5db3d7, v137
	;; [unrolled: 1-line block ×7, first 2 shown]
	v_sub_f32_e32 v156, v156, v138
	v_fmac_f32_e32 v149, -0.5, v83
	v_fmac_f32_e32 v150, -0.5, v129
	v_fmac_f32_e32 v134, 0x3eaf1d44, v140
	v_fmac_f32_e32 v149, 0xbf708fb2, v128
	;; [unrolled: 1-line block ×3, first 2 shown]
	v_add_f32_e32 v149, v151, v149
	v_sub_f32_e32 v150, v150, v141
	v_fma_f32 v151, -2.0, v151, v149
	v_fma_f32 v152, 2.0, v141, v150
	v_add_f32_e32 v141, v132, v128
	ds_write2_b64 v223, v[149:150], v[151:152] offset0:204 offset1:255
	v_add_f32_e32 v150, v159, v141
	v_add_f32_e32 v149, v83, v145
	;; [unrolled: 1-line block ×3, first 2 shown]
	v_fmamk_f32 v152, v160, 0x3f441b7d, v146
	v_fmac_f32_e32 v149, -0.5, v150
	v_add_f32_e32 v150, v129, v146
	v_fmac_f32_e32 v152, 0x3e31d0d4, v82
	v_fmac_f32_e32 v149, 0x3f5db3d7, v155
	v_fmac_f32_e32 v150, -0.5, v151
	v_fmamk_f32 v151, v159, 0x3f441b7d, v145
	v_fmac_f32_e32 v152, -0.5, v129
	v_mul_f32_e32 v155, 0x3f5db3d7, v155
	v_fmac_f32_e32 v150, 0xbf5db3d7, v156
	v_fmac_f32_e32 v151, 0x3e31d0d4, v128
	v_fmamk_f32 v128, v128, 0x3f441b7d, v145
	v_fmac_f32_e32 v152, 0xbf708fb2, v133
	v_mul_f32_e32 v156, 0x3f5db3d7, v156
	v_fma_f32 v155, -2.0, v155, v149
	v_fmac_f32_e32 v151, -0.5, v83
	v_fmac_f32_e32 v128, 0x3e31d0d4, v132
	v_sub_f32_e32 v152, v152, v162
	v_fma_f32 v156, 2.0, v156, v150
	v_fmac_f32_e32 v151, 0xbf708fb2, v132
	v_fmamk_f32 v132, v82, 0x3f441b7d, v146
	v_add_f32_e32 v82, v83, v141
	v_fmac_f32_e32 v128, -0.5, v83
	v_add_f32_e32 v83, v129, v161
	v_add_f32_e32 v151, v163, v151
	v_fmac_f32_e32 v132, 0x3e31d0d4, v133
	v_add_f32_e32 v82, v114, v82
	v_fmac_f32_e32 v128, 0xbf708fb2, v159
	v_add_f32_e32 v83, v115, v83
	v_add_f32_e32 v133, v101, v127
	v_fmac_f32_e32 v132, -0.5, v129
	v_add_f32_e32 v114, v124, v82
	v_add_f32_e32 v82, v135, v128
	;; [unrolled: 1-line block ×4, first 2 shown]
	v_fmac_f32_e32 v132, 0xbf708fb2, v160
	v_add_f32_e32 v114, v114, v145
	v_add_f32_e32 v125, v100, v126
	;; [unrolled: 1-line block ×4, first 2 shown]
	v_sub_f32_e32 v83, v132, v134
	v_add_f32_e32 v132, v119, v117
	v_add_f32_e32 v129, v125, v124
	v_sub_f32_e32 v109, v120, v109
	v_sub_f32_e32 v120, v102, v122
	ds_write2_b64 v223, v[114:115], v[82:83] offset1:51
	v_fma_f32 v82, -2.0, v135, v82
	v_fma_f32 v83, 2.0, v134, v83
	v_add_f32_e32 v134, v121, v110
	v_add_f32_e32 v135, v133, v132
	;; [unrolled: 1-line block ×3, first 2 shown]
	v_sub_f32_e32 v110, v121, v110
	v_add_f32_e32 v121, v102, v122
	ds_write2_b64 v223, v[151:152], v[149:150] offset0:102 offset1:153
	v_add_f32_e32 v115, v134, v135
	v_add_f32_e32 v114, v103, v114
	v_fma_f32 v149, -2.0, v163, v151
	v_fma_f32 v150, 2.0, v162, v152
	v_add_f32_e32 v115, v102, v115
	v_add_f32_e32 v114, v123, v114
	ds_write2_b64 v144, v[155:156], v[149:150] offset0:50 offset1:101
	v_add_f32_e32 v115, v122, v115
	v_add_f32_e32 v114, v114, v147
	;; [unrolled: 1-line block ×3, first 2 shown]
	ds_write2_b64 v144, v[82:83], v[114:115] offset0:152 offset1:203
	v_sub_f32_e32 v114, v118, v116
	v_sub_f32_e32 v115, v119, v117
	;; [unrolled: 1-line block ×3, first 2 shown]
	v_add_f32_e32 v119, v103, v123
	v_sub_f32_e32 v116, v100, v126
	v_sub_f32_e32 v117, v101, v127
	v_mul_f32_e32 v103, 0x3f248dbb, v114
	v_mul_f32_e32 v102, 0x3f248dbb, v115
	v_fmamk_f32 v82, v124, 0x3f441b7d, v147
	v_fmamk_f32 v83, v132, 0x3f441b7d, v148
	v_mul_f32_e32 v122, 0xbf248dbb, v118
	v_mul_f32_e32 v123, 0xbf248dbb, v120
	v_fmamk_f32 v100, v119, 0x3f441b7d, v147
	v_fmamk_f32 v101, v121, 0x3f441b7d, v148
	v_fmac_f32_e32 v103, 0x3f7c1c5c, v116
	v_fmac_f32_e32 v102, 0x3f7c1c5c, v117
	;; [unrolled: 1-line block ×10, first 2 shown]
	v_fmac_f32_e32 v82, -0.5, v128
	v_fmac_f32_e32 v83, -0.5, v134
	v_fmac_f32_e32 v122, 0xbf5db3d7, v109
	v_fmac_f32_e32 v123, 0xbf5db3d7, v110
	v_fmac_f32_e32 v100, -0.5, v128
	v_fmac_f32_e32 v101, -0.5, v134
	v_fmac_f32_e32 v103, 0x3eaf1d44, v118
	v_fmac_f32_e32 v102, 0x3eaf1d44, v120
	;; [unrolled: 1-line block ×8, first 2 shown]
	v_add_f32_e32 v82, v102, v82
	v_sub_f32_e32 v83, v83, v103
	v_add_f32_e32 v100, v123, v100
	v_sub_f32_e32 v101, v101, v122
	v_fma_f32 v102, -2.0, v102, v82
	v_fma_f32 v103, 2.0, v103, v83
	ds_write2_b64 v143, v[82:83], v[100:101] offset0:126 offset1:177
	v_fma_f32 v82, -2.0, v123, v100
	v_fma_f32 v83, 2.0, v122, v101
	v_fmamk_f32 v100, v125, 0x3f441b7d, v147
	ds_write2_b64 v131, v[82:83], v[102:103] offset0:48 offset1:99
	v_mul_f32_e32 v82, 0x3f7c1c5c, v118
	v_add_f32_e32 v83, v134, v148
	v_fmac_f32_e32 v148, 0x3f441b7d, v133
	v_fmac_f32_e32 v100, 0x3e31d0d4, v119
	v_add_f32_e32 v102, v118, v114
	v_fma_f32 v122, 0xbf248dbb, v116, -v82
	v_add_f32_e32 v82, v128, v147
	v_fmac_f32_e32 v148, 0x3e31d0d4, v121
	v_add_f32_e32 v103, v119, v129
	v_fmac_f32_e32 v100, -0.5, v128
	v_fmac_f32_e32 v122, 0x3f5db3d7, v109
	v_mul_f32_e32 v109, 0x3f7c1c5c, v120
	v_fmac_f32_e32 v148, -0.5, v134
	v_fmac_f32_e32 v82, -0.5, v103
	v_fmac_f32_e32 v100, 0xbf708fb2, v124
	v_fmac_f32_e32 v122, 0x3eaf1d44, v114
	v_fma_f32 v109, 0xbf248dbb, v117, -v109
	v_add_f32_e32 v114, v121, v135
	v_fmac_f32_e32 v148, 0xbf708fb2, v132
	v_sub_f32_e32 v102, v102, v116
	v_add_nc_u32_e32 v118, 0x1c00, v79
	v_fmac_f32_e32 v109, 0x3f5db3d7, v110
	v_add_f32_e32 v110, v120, v115
	v_fmac_f32_e32 v83, -0.5, v114
	v_sub_f32_e32 v101, v148, v122
	v_sub_f32_e32 v114, v99, v106
	v_fmac_f32_e32 v109, 0x3eaf1d44, v115
	v_sub_f32_e32 v110, v110, v117
	v_fmac_f32_e32 v83, 0xbf5db3d7, v102
	v_add_f32_e32 v117, v86, v87
	v_mul_f32_e32 v84, 0x3f7c1c5c, v114
	v_add_f32_e32 v100, v109, v100
	v_fmac_f32_e32 v82, 0x3f5db3d7, v110
	v_mul_f32_e32 v103, 0x3f5db3d7, v110
	v_mul_f32_e32 v110, 0x3f5db3d7, v102
	ds_write2_b64 v142, v[82:83], v[100:101] offset0:100 offset1:151
	v_fma_f32 v102, -2.0, v103, v82
	v_fma_f32 v103, 2.0, v110, v83
	v_fma_f32 v82, -2.0, v109, v100
	v_fma_f32 v83, 2.0, v122, v101
	v_add_f32_e32 v110, v93, v111
	v_add_f32_e32 v109, v94, v113
	v_sub_f32_e32 v94, v94, v113
	v_add_f32_e32 v113, v98, v108
	ds_write2_b64 v142, v[82:83], v[102:103] offset0:202 offset1:253
	v_mul_f32_e32 v82, v154, v15
	v_mul_f32_e32 v83, v153, v15
	v_sub_f32_e32 v98, v98, v108
	v_add_f32_e32 v108, v95, v107
	v_sub_f32_e32 v95, v95, v107
	v_fma_f32 v82, v153, v14, -v82
	buffer_store_dword v12, off, s[16:19], 0 offset:124 ; 4-byte Folded Spill
	buffer_store_dword v13, off, s[16:19], 0 offset:128 ; 4-byte Folded Spill
	;; [unrolled: 1-line block ×4, first 2 shown]
	v_sub_f32_e32 v111, v93, v111
	v_fmamk_f32 v90, v109, 0x3f441b7d, v80
	v_add_f32_e32 v100, v92, v82
	v_sub_f32_e32 v101, v92, v82
	v_fma_f32 v92, 0xbf248dbb, v111, -v84
	v_add_f32_e32 v84, v108, v81
	v_fmac_f32_e32 v90, 0x3e31d0d4, v117
	v_fmac_f32_e32 v92, 0x3f5db3d7, v95
	v_fmac_f32_e32 v90, -0.5, v113
	v_fmac_f32_e32 v90, 0xbf708fb2, v100
	v_fmac_f32_e32 v83, v154, v14
	v_add_f32_e32 v102, v91, v83
	v_sub_f32_e32 v103, v91, v83
	v_add_f32_e32 v107, v110, v102
	v_fmamk_f32 v115, v102, 0x3f441b7d, v81
	v_fmac_f32_e32 v92, 0x3eaf1d44, v103
	v_add_f32_e32 v82, v108, v107
	v_fmac_f32_e32 v115, 0x3e31d0d4, v110
	v_add_f32_e32 v90, v92, v90
	v_add_f32_e32 v82, v99, v82
	;; [unrolled: 1-line block ×3, first 2 shown]
	v_fma_f32 v92, -2.0, v92, v90
	v_fmac_f32_e32 v115, -0.5, v108
	v_add_f32_e32 v82, v106, v82
	v_sub_f32_e32 v106, v86, v87
	v_fmamk_f32 v116, v99, 0x3f441b7d, v81
	v_add_f32_e32 v107, v99, v107
	v_fmac_f32_e32 v115, 0xbf708fb2, v99
	v_add_f32_e32 v82, v82, v81
	v_mul_f32_e32 v83, 0x3f7c1c5c, v106
	v_fmac_f32_e32 v81, 0x3f441b7d, v110
	v_fmac_f32_e32 v116, 0x3e31d0d4, v102
	v_fmac_f32_e32 v84, -0.5, v107
	v_add_f32_e32 v107, v114, v103
	v_fma_f32 v83, 0xbf248dbb, v94, -v83
	v_fmac_f32_e32 v81, 0x3e31d0d4, v99
	v_fmac_f32_e32 v116, -0.5, v108
	v_sub_f32_e32 v107, v107, v111
	v_fmac_f32_e32 v83, 0x3f5db3d7, v98
	v_fmac_f32_e32 v81, -0.5, v108
	v_fmac_f32_e32 v116, 0xbf708fb2, v110
	v_fmac_f32_e32 v83, 0x3eaf1d44, v101
	;; [unrolled: 1-line block ×3, first 2 shown]
	v_add_f32_e32 v102, v109, v100
	v_sub_f32_e32 v91, v81, v83
	v_add_nc_u32_e32 v81, 0x2000, v79
	v_fma_f32 v93, 2.0, v83, v91
	v_add_f32_e32 v83, v113, v80
	ds_write2_b64 v81, v[90:91], v[92:93] offset0:98 offset1:149
	v_mul_f32_e32 v93, 0xbf248dbb, v106
	v_add_f32_e32 v90, v117, v102
	v_mul_f32_e32 v92, 0xbf248dbb, v114
	v_fmac_f32_e32 v93, 0x3f7c1c5c, v101
	v_fmac_f32_e32 v83, -0.5, v90
	v_fmamk_f32 v90, v117, 0x3f441b7d, v80
	v_fmac_f32_e32 v92, 0x3f7c1c5c, v103
	v_fmac_f32_e32 v93, 0xbf5db3d7, v98
	;; [unrolled: 1-line block ×6, first 2 shown]
	v_fmac_f32_e32 v90, -0.5, v113
	v_fmac_f32_e32 v92, 0x3eaf1d44, v111
	v_sub_f32_e32 v91, v116, v93
	v_add_f32_e32 v116, v106, v101
	v_fmac_f32_e32 v90, 0xbf708fb2, v109
	v_fma_f32 v93, 2.0, v93, v91
	v_sub_f32_e32 v116, v116, v94
	v_add_f32_e32 v90, v92, v90
	v_fmac_f32_e32 v84, 0xbf5db3d7, v116
	v_fma_f32 v92, -2.0, v92, v90
	ds_write2_b64 v118, v[90:91], v[83:84] offset0:124 offset1:175
	v_mul_f32_e32 v90, 0x3f5db3d7, v107
	v_mul_f32_e32 v91, 0x3f5db3d7, v116
	v_fma_f32 v83, -2.0, v90, v83
	v_fma_f32 v84, 2.0, v91, v84
	ds_write2_b64 v81, v[83:84], v[92:93] offset0:200 offset1:251
	v_add_f32_e32 v81, v113, v102
	v_add_f32_e32 v81, v86, v81
	v_mul_f32_e32 v86, 0x3f248dbb, v101
	v_add_f32_e32 v81, v87, v81
	v_mul_f32_e32 v87, 0x3f248dbb, v103
	v_fmac_f32_e32 v86, 0x3f7c1c5c, v94
	v_add_f32_e32 v81, v81, v80
	v_fmamk_f32 v80, v100, 0x3f441b7d, v80
	v_fmac_f32_e32 v87, 0x3f7c1c5c, v111
	v_fmac_f32_e32 v86, 0x3f5db3d7, v98
	;; [unrolled: 1-line block ×5, first 2 shown]
	v_fmac_f32_e32 v80, -0.5, v113
	v_fmac_f32_e32 v87, 0x3eaf1d44, v114
	v_sub_f32_e32 v84, v115, v86
	v_fmac_f32_e32 v80, 0xbf708fb2, v117
	v_add_f32_e32 v83, v87, v80
	v_add_nc_u32_e32 v80, 0x1800, v79
	ds_write2_b64 v80, v[81:82], v[83:84] offset0:150 offset1:201
	v_fma_f32 v80, -2.0, v87, v83
	v_fma_f32 v81, 2.0, v86, v84
	v_lshlrev_b32_e32 v82, 4, v85
	ds_write_b64 v79, v[80:81] offset:10608
	v_lshlrev_b32_e32 v80, 4, v205
	s_waitcnt lgkmcnt(0)
	s_waitcnt_vscnt null, 0x0
	s_barrier
	buffer_gl0_inv
	v_add_co_u32 v80, s0, s4, v80
	v_add_co_ci_u32_e64 v81, null, s5, 0, s0
	v_add_co_u32 v80, s0, 0x800, v80
	v_add_co_ci_u32_e64 v81, s0, 0, v81, s0
	v_add_co_u32 v82, s0, s4, v82
	v_add_co_ci_u32_e64 v83, null, s5, 0, s0
	v_add_co_u32 v84, s0, 0x800, v82
	v_add_co_ci_u32_e64 v85, s0, 0, v83, s0
	s_clause 0x1
	global_load_dwordx4 v[80:83], v[80:81], off offset:1488
	global_load_dwordx4 v[84:87], v[84:85], off offset:1488
	ds_read2_b64 v[90:93], v131 offset0:150 offset1:201
	ds_read2_b64 v[98:101], v143 offset0:126 offset1:177
	v_add_co_u32 v88, s0, s4, v88
	s_waitcnt vmcnt(1) lgkmcnt(1)
	v_mul_f32_e32 v94, v91, v83
	v_mul_f32_e32 v133, v90, v83
	s_waitcnt vmcnt(0)
	v_mul_f32_e32 v135, v92, v87
	s_waitcnt lgkmcnt(0)
	v_mul_f32_e32 v124, v98, v85
	v_fma_f32 v132, v90, v82, -v94
	v_mul_f32_e32 v90, v93, v87
	v_fmac_f32_e32 v133, v91, v82
	v_add_co_ci_u32_e64 v91, null, s5, 0, s0
	v_fmac_f32_e32 v135, v93, v86
	v_fma_f32 v134, v92, v86, -v90
	v_add_co_u32 v90, s0, 0x800, v88
	v_lshlrev_b32_e32 v88, 4, v89
	v_add_co_ci_u32_e64 v91, s0, 0, v91, s0
	v_mul_f32_e32 v92, v99, v85
	v_fmac_f32_e32 v124, v99, v84
	v_add_co_u32 v88, s0, s4, v88
	v_add_co_ci_u32_e64 v89, null, s5, 0, s0
	v_fma_f32 v125, v98, v84, -v92
	v_add_co_u32 v88, s0, 0x800, v88
	v_add_co_ci_u32_e64 v89, s0, 0, v89, s0
	s_clause 0x1
	global_load_dwordx4 v[92:95], v[90:91], off offset:1488
	global_load_dwordx4 v[88:91], v[88:89], off offset:1488
	ds_read2_b64 v[106:109], v142 offset0:100 offset1:151
	v_add_co_u32 v97, s0, s4, v97
	v_add_f32_e32 v138, v125, v134
	s_waitcnt vmcnt(1)
	v_mul_f32_e32 v98, v101, v93
	v_mul_f32_e32 v137, v100, v93
	s_waitcnt vmcnt(0) lgkmcnt(0)
	v_mul_f32_e32 v128, v106, v89
	v_fma_f32 v136, v100, v92, -v98
	v_fmac_f32_e32 v137, v101, v92
	ds_read2_b64 v[98:101], v158 offset0:124 offset1:175
	v_fmac_f32_e32 v128, v107, v88
	s_waitcnt lgkmcnt(0)
	v_mul_f32_e32 v102, v99, v95
	v_mul_f32_e32 v141, v98, v95
	;; [unrolled: 1-line block ×3, first 2 shown]
	v_fma_f32 v140, v98, v94, -v102
	v_mul_f32_e32 v98, v101, v91
	v_fmac_f32_e32 v141, v99, v94
	v_fmac_f32_e32 v146, v101, v90
	v_sub_f32_e32 v172, v136, v140
	v_fma_f32 v145, v100, v90, -v98
	v_add_co_ci_u32_e64 v98, null, s5, 0, s0
	v_add_co_u32 v97, s0, 0x800, v97
	v_add_co_ci_u32_e64 v98, s0, 0, v98, s0
	v_add_co_u32 v96, s0, s4, v96
	v_add_co_ci_u32_e64 v99, null, s5, 0, s0
	v_add_co_u32 v110, s0, 0x800, v96
	v_mul_f32_e32 v96, v107, v89
	v_add_co_ci_u32_e64 v111, s0, 0, v99, s0
	v_add_co_u32 v104, s0, s4, v104
	v_fma_f32 v129, v106, v88, -v96
	s_clause 0x1
	global_load_dwordx4 v[100:103], v[97:98], off offset:1488
	global_load_dwordx4 v[96:99], v[110:111], off offset:1488
	ds_read2_b64 v[113:116], v142 offset0:202 offset1:253
	s_waitcnt vmcnt(1)
	v_mul_f32_e32 v106, v109, v101
	v_mul_f32_e32 v148, v108, v101
	s_waitcnt vmcnt(0) lgkmcnt(0)
	v_mul_f32_e32 v154, v113, v97
	v_fma_f32 v147, v108, v100, -v106
	v_fmac_f32_e32 v148, v109, v100
	ds_read2_b64 v[106:109], v130 offset0:98 offset1:149
	v_fmac_f32_e32 v154, v114, v96
	s_waitcnt lgkmcnt(0)
	v_mul_f32_e32 v110, v107, v103
	v_mul_f32_e32 v150, v106, v103
	;; [unrolled: 1-line block ×3, first 2 shown]
	v_fma_f32 v149, v106, v102, -v110
	v_mul_f32_e32 v106, v109, v99
	v_fmac_f32_e32 v150, v107, v102
	v_add_co_ci_u32_e64 v107, null, s5, 0, s0
	v_fmac_f32_e32 v152, v109, v98
	v_fma_f32 v151, v108, v98, -v106
	v_add_co_u32 v106, s0, 0x800, v104
	v_lshlrev_b32_e32 v104, 4, v105
	v_add_co_ci_u32_e64 v107, s0, 0, v107, s0
	v_mul_f32_e32 v108, v114, v97
	v_add_co_u32 v104, s0, s4, v104
	v_add_co_ci_u32_e64 v105, null, s5, 0, s0
	v_fma_f32 v153, v113, v96, -v108
	v_add_co_u32 v104, s0, 0x800, v104
	v_add_co_ci_u32_e64 v105, s0, 0, v105, s0
	s_clause 0x1
	global_load_dwordx4 v[108:111], v[106:107], off offset:1488
	global_load_dwordx4 v[104:107], v[104:105], off offset:1488
	v_add_co_u32 v112, s0, s4, v112
	ds_read2_b64 v[120:123], v144 offset0:152 offset1:203
	s_waitcnt lgkmcnt(0)
	v_mul_f32_e32 v127, v122, v81
	v_fmac_f32_e32 v127, v123, v80
	v_sub_f32_e32 v139, v127, v133
	s_waitcnt vmcnt(1)
	v_mul_f32_e32 v113, v116, v109
	v_mul_f32_e32 v156, v115, v109
	v_fma_f32 v155, v115, v108, -v113
	v_fmac_f32_e32 v156, v116, v108
	ds_read2_b64 v[113:116], v130 offset0:200 offset1:251
	s_waitcnt lgkmcnt(0)
	v_mul_f32_e32 v117, v114, v111
	v_mul_f32_e32 v159, v113, v111
	s_waitcnt vmcnt(0)
	v_mul_f32_e32 v161, v115, v107
	v_fma_f32 v157, v113, v110, -v117
	v_mul_f32_e32 v113, v116, v107
	v_fmac_f32_e32 v159, v114, v110
	v_fmac_f32_e32 v161, v116, v106
	v_fma_f32 v160, v115, v106, -v113
	ds_read2_b64 v[114:117], v131 offset0:48 offset1:99
	v_add_co_ci_u32_e64 v113, null, s5, 0, s0
	v_add_co_u32 v112, s0, 0x800, v112
	v_add_co_ci_u32_e64 v113, s0, 0, v113, s0
	s_waitcnt lgkmcnt(0)
	v_mul_f32_e32 v118, v115, v105
	v_mul_f32_e32 v163, v114, v105
	v_fma_f32 v162, v114, v104, -v118
	v_fmac_f32_e32 v163, v115, v104
	global_load_dwordx4 v[112:115], v[112:113], off offset:1488
	s_waitcnt vmcnt(0)
	v_mul_f32_e32 v118, v117, v113
	v_mul_f32_e32 v165, v116, v113
	v_fma_f32 v164, v116, v112, -v118
	v_mul_f32_e32 v116, v123, v81
	v_fmac_f32_e32 v165, v117, v112
	v_add_f32_e32 v123, v127, v133
	v_fma_f32 v126, v122, v80, -v116
	ds_read2_b64 v[116:119], v223 offset1:51
	v_add_f32_e32 v122, v126, v132
	v_sub_f32_e32 v168, v126, v132
	s_waitcnt lgkmcnt(0)
	v_fma_f32 v122, -0.5, v122, v116
	v_fma_f32 v123, -0.5, v123, v117
	v_add_f32_e32 v166, v118, v125
	v_fma_f32 v118, -0.5, v138, v118
	v_add_f32_e32 v138, v124, v135
	v_add_f32_e32 v167, v119, v124
	;; [unrolled: 1-line block ×3, first 2 shown]
	v_sub_f32_e32 v127, v137, v141
	v_fmac_f32_e32 v119, -0.5, v138
	v_fmamk_f32 v138, v139, 0x3f5db3d7, v122
	v_fmac_f32_e32 v122, 0xbf5db3d7, v139
	v_fmamk_f32 v139, v168, 0xbf5db3d7, v123
	v_fmac_f32_e32 v123, 0x3f5db3d7, v168
	v_sub_f32_e32 v168, v124, v135
	v_fmamk_f32 v124, v168, 0x3f5db3d7, v118
	v_fmac_f32_e32 v118, 0xbf5db3d7, v168
	v_sub_f32_e32 v168, v125, v134
	v_fmamk_f32 v125, v168, 0xbf5db3d7, v119
	v_fmac_f32_e32 v119, 0x3f5db3d7, v168
	v_add_f32_e32 v168, v116, v126
	v_add_f32_e32 v126, v129, v145
	ds_write2_b64 v131, v[122:123], v[118:119] offset0:150 offset1:201
	ds_read2_b64 v[116:119], v223 offset0:102 offset1:153
	v_add_f32_e32 v122, v136, v140
	v_add_f32_e32 v123, v137, v141
	s_waitcnt lgkmcnt(0)
	v_fma_f32 v122, -0.5, v122, v116
	v_fma_f32 v123, -0.5, v123, v117
	v_add_f32_e32 v170, v118, v129
	v_fma_f32 v118, -0.5, v126, v118
	v_add_f32_e32 v126, v128, v146
	v_add_f32_e32 v171, v119, v128
	v_fmac_f32_e32 v119, -0.5, v126
	v_fmamk_f32 v126, v127, 0x3f5db3d7, v122
	v_fmac_f32_e32 v122, 0xbf5db3d7, v127
	v_fmamk_f32 v127, v172, 0xbf5db3d7, v123
	v_fmac_f32_e32 v123, 0x3f5db3d7, v172
	v_sub_f32_e32 v172, v128, v146
	v_fmamk_f32 v128, v172, 0x3f5db3d7, v118
	v_fmac_f32_e32 v118, 0xbf5db3d7, v172
	v_sub_f32_e32 v172, v129, v145
	v_fmamk_f32 v129, v172, 0xbf5db3d7, v119
	v_fmac_f32_e32 v119, 0x3f5db3d7, v172
	ds_write2_b64 v158, v[122:123], v[118:119] offset0:124 offset1:175
	v_add_f32_e32 v122, v116, v136
	v_add_f32_e32 v123, v117, v137
	;; [unrolled: 1-line block ×6, first 2 shown]
	ds_write2_b64 v223, v[116:117], v[118:119] offset1:51
	v_add_f32_e32 v116, v122, v140
	v_add_f32_e32 v117, v123, v141
	;; [unrolled: 1-line block ×4, first 2 shown]
	v_sub_f32_e32 v145, v155, v157
	ds_write2_b64 v223, v[116:117], v[118:119] offset0:102 offset1:153
	ds_read2_b64 v[116:119], v223 offset0:204 offset1:255
	s_waitcnt lgkmcnt(0)
	v_add_f32_e32 v122, v116, v147
	v_add_f32_e32 v123, v117, v148
	;; [unrolled: 1-line block ×8, first 2 shown]
	ds_write2_b64 v223, v[122:123], v[132:133] offset0:204 offset1:255
	ds_write2_b64 v143, v[124:125], v[126:127] offset0:126 offset1:177
	v_add_f32_e32 v122, v148, v150
	v_add_f32_e32 v123, v147, v149
	v_sub_f32_e32 v124, v148, v150
	v_sub_f32_e32 v125, v147, v149
	v_fma_f32 v117, -0.5, v122, v117
	v_fma_f32 v116, -0.5, v123, v116
	v_fmamk_f32 v123, v125, 0xbf5db3d7, v117
	v_fmamk_f32 v122, v124, 0x3f5db3d7, v116
	v_fmac_f32_e32 v116, 0xbf5db3d7, v124
	v_fmac_f32_e32 v117, 0x3f5db3d7, v125
	v_add_f32_e32 v124, v156, v159
	ds_write2_b64 v142, v[128:129], v[122:123] offset0:100 offset1:151
	ds_read_b64 v[122:123], v223 offset:10608
	s_waitcnt lgkmcnt(0)
	v_mul_f32_e32 v126, v123, v115
	v_mul_f32_e32 v141, v122, v115
	v_fma_f32 v140, v122, v114, -v126
	v_add_f32_e32 v122, v154, v152
	v_add_f32_e32 v126, v153, v151
	v_fmac_f32_e32 v141, v123, v114
	v_sub_f32_e32 v123, v154, v152
	v_add_f32_e32 v146, v164, v140
	v_fmac_f32_e32 v119, -0.5, v122
	v_fma_f32 v118, -0.5, v126, v118
	v_sub_f32_e32 v126, v153, v151
	v_sub_f32_e32 v147, v164, v140
	v_fmamk_f32 v122, v123, 0x3f5db3d7, v118
	v_fmac_f32_e32 v118, 0xbf5db3d7, v123
	v_fmamk_f32 v123, v126, 0xbf5db3d7, v119
	v_fmac_f32_e32 v119, 0x3f5db3d7, v126
	ds_read2_b64 v[126:129], v144 offset0:50 offset1:101
	ds_write2_b64 v130, v[116:117], v[118:119] offset0:98 offset1:149
	v_sub_f32_e32 v116, v156, v159
	s_waitcnt lgkmcnt(1)
	v_add_f32_e32 v117, v127, v156
	v_fma_f32 v137, -0.5, v124, v127
	v_add_f32_e32 v125, v126, v155
	v_sub_f32_e32 v127, v165, v141
	v_add_f32_e32 v133, v117, v159
	v_add_f32_e32 v117, v155, v157
	v_fmamk_f32 v135, v145, 0xbf5db3d7, v137
	v_add_f32_e32 v132, v125, v157
	v_fmac_f32_e32 v137, 0x3f5db3d7, v145
	v_fma_f32 v136, -0.5, v117, v126
	v_add_f32_e32 v117, v120, v164
	v_add_f32_e32 v126, v128, v162
	v_fma_f32 v120, -0.5, v146, v120
	v_fmamk_f32 v134, v116, 0x3f5db3d7, v136
	v_add_f32_e32 v124, v117, v140
	v_fmac_f32_e32 v136, 0xbf5db3d7, v116
	v_lshlrev_b32_e32 v116, 3, v205
	v_sub_f32_e32 v117, v163, v161
	ds_write2_b64 v142, v[122:123], v[134:135] offset0:202 offset1:253
	v_add_f32_e32 v122, v121, v165
	v_add_f32_e32 v123, v163, v161
	v_add_co_u32 v157, s0, s6, v116
	v_add_co_ci_u32_e64 v171, null, s7, 0, s0
	v_add_f32_e32 v125, v122, v141
	v_add_f32_e32 v122, v129, v163
	v_add_f32_e32 v141, v165, v141
	v_fmac_f32_e32 v129, -0.5, v123
	v_add_co_u32 v116, s0, 0x2800, v157
	ds_write2_b64 v144, v[124:125], v[138:139] offset0:152 offset1:203
	v_add_f32_e32 v139, v122, v161
	v_add_f32_e32 v122, v162, v160
	;; [unrolled: 1-line block ×3, first 2 shown]
	v_sub_f32_e32 v126, v162, v160
	v_fmac_f32_e32 v121, -0.5, v141
	v_fma_f32 v128, -0.5, v122, v128
	v_fmamk_f32 v141, v126, 0xbf5db3d7, v129
	v_fmac_f32_e32 v129, 0x3f5db3d7, v126
	v_fmamk_f32 v126, v127, 0x3f5db3d7, v120
	v_fmamk_f32 v140, v117, 0x3f5db3d7, v128
	v_fmac_f32_e32 v128, 0xbf5db3d7, v117
	v_fmac_f32_e32 v120, 0xbf5db3d7, v127
	v_fmamk_f32 v127, v147, 0xbf5db3d7, v121
	v_fmac_f32_e32 v121, 0x3f5db3d7, v147
	v_add_co_ci_u32_e64 v117, s0, 0, v171, s0
	ds_write2_b64 v144, v[132:133], v[138:139] offset0:50 offset1:101
	ds_write2_b64 v130, v[136:137], v[128:129] offset0:200 offset1:251
	;; [unrolled: 1-line block ×3, first 2 shown]
	ds_write_b64 v223, v[120:121] offset:10608
	s_waitcnt lgkmcnt(0)
	s_barrier
	buffer_gl0_inv
	global_load_dwordx2 v[122:123], v[116:117], off offset:776
	ds_read2_b64 v[145:148], v223 offset1:81
	v_add_co_u32 v116, s0, 0x2b08, v157
	v_add_co_ci_u32_e64 v117, s0, 0, v171, s0
	global_load_dwordx2 v[149:150], v[116:117], off offset:1944
	s_waitcnt vmcnt(1) lgkmcnt(0)
	v_mul_f32_e32 v151, v146, v123
	v_mul_f32_e32 v152, v145, v123
	v_fma_f32 v151, v145, v122, -v151
	v_fmac_f32_e32 v152, v146, v122
	s_clause 0x1
	global_load_dwordx2 v[122:123], v[116:117], off offset:648
	global_load_dwordx2 v[153:154], v[116:117], off offset:1296
	s_waitcnt vmcnt(1)
	v_mul_f32_e32 v145, v148, v123
	v_mul_f32_e32 v146, v147, v123
	v_fma_f32 v145, v147, v122, -v145
	v_fmac_f32_e32 v146, v148, v122
	ds_write2_b64 v223, v[151:152], v[145:146] offset1:81
	ds_read2_b64 v[145:148], v223 offset0:162 offset1:243
	s_waitcnt vmcnt(0) lgkmcnt(0)
	v_mul_f32_e32 v122, v146, v154
	v_mul_f32_e32 v123, v145, v154
	;; [unrolled: 1-line block ×3, first 2 shown]
	v_fma_f32 v122, v145, v153, -v122
	v_mul_f32_e32 v145, v148, v150
	v_fmac_f32_e32 v123, v146, v153
	v_fmac_f32_e32 v152, v148, v149
	v_fma_f32 v151, v147, v149, -v145
	v_add_co_u32 v145, s0, 0x3000, v157
	v_add_co_ci_u32_e64 v146, s0, 0, v171, s0
	s_clause 0x1
	global_load_dwordx2 v[149:150], v[145:146], off offset:1320
	global_load_dwordx2 v[153:154], v[145:146], off offset:1968
	v_add_co_u32 v155, s0, 0x3800, v157
	v_add_co_ci_u32_e64 v156, s0, 0, v171, s0
	s_clause 0x1
	global_load_dwordx2 v[159:160], v[155:156], off offset:568
	global_load_dwordx2 v[161:162], v[155:156], off offset:1216
	ds_read2_b64 v[145:148], v144 offset0:68 offset1:149
	global_load_dwordx2 v[155:156], v[155:156], off offset:1864
	s_waitcnt vmcnt(4) lgkmcnt(0)
	v_mul_f32_e32 v163, v146, v150
	v_mul_f32_e32 v164, v145, v150
	s_waitcnt vmcnt(3)
	v_mul_f32_e32 v150, v147, v154
	v_fma_f32 v163, v145, v149, -v163
	v_mul_f32_e32 v145, v148, v154
	v_fmac_f32_e32 v164, v146, v149
	v_fmac_f32_e32 v150, v148, v153
	v_fma_f32 v149, v147, v153, -v145
	ds_read2_b64 v[145:148], v143 offset0:102 offset1:183
	s_waitcnt vmcnt(2) lgkmcnt(0)
	v_mul_f32_e32 v153, v146, v160
	v_mul_f32_e32 v154, v145, v160
	s_waitcnt vmcnt(1)
	v_mul_f32_e32 v160, v147, v162
	v_fma_f32 v153, v145, v159, -v153
	v_mul_f32_e32 v145, v148, v162
	v_fmac_f32_e32 v154, v146, v159
	v_fmac_f32_e32 v160, v148, v161
	v_fma_f32 v159, v147, v161, -v145
	v_add_co_u32 v145, s0, 0x4000, v157
	v_add_co_ci_u32_e64 v146, s0, 0, v171, s0
	s_clause 0x2
	global_load_dwordx2 v[161:162], v[145:146], off offset:464
	global_load_dwordx2 v[165:166], v[145:146], off offset:1112
	;; [unrolled: 1-line block ×3, first 2 shown]
	ds_read2_b64 v[145:148], v142 offset0:136 offset1:217
	s_waitcnt vmcnt(3) lgkmcnt(0)
	v_mul_f32_e32 v169, v146, v156
	v_mul_f32_e32 v170, v145, v156
	v_fma_f32 v169, v145, v155, -v169
	v_fmac_f32_e32 v170, v146, v155
	s_waitcnt vmcnt(2)
	v_mul_f32_e32 v145, v148, v162
	v_mul_f32_e32 v156, v147, v162
	v_fma_f32 v155, v147, v161, -v145
	v_fmac_f32_e32 v156, v148, v161
	ds_read2_b64 v[145:148], v131 offset0:42 offset1:123
	s_waitcnt vmcnt(1) lgkmcnt(0)
	v_mul_f32_e32 v161, v146, v166
	v_mul_f32_e32 v162, v145, v166
	s_waitcnt vmcnt(0)
	v_mul_f32_e32 v166, v147, v168
	v_fma_f32 v161, v145, v165, -v161
	v_mul_f32_e32 v145, v148, v168
	v_fmac_f32_e32 v162, v146, v165
	v_fmac_f32_e32 v166, v148, v167
	v_fma_f32 v165, v147, v167, -v145
	v_add_co_u32 v145, s0, 0x4800, v157
	v_add_co_ci_u32_e64 v146, s0, 0, v171, s0
	v_add_co_u32 v167, s0, 0x5000, v157
	v_add_co_ci_u32_e64 v168, s0, 0, v171, s0
	s_clause 0x3
	global_load_dwordx2 v[171:172], v[145:146], off offset:360
	global_load_dwordx2 v[176:177], v[145:146], off offset:1008
	;; [unrolled: 1-line block ×4, first 2 shown]
	ds_read2_b64 v[145:148], v158 offset0:76 offset1:157
	s_waitcnt vmcnt(3) lgkmcnt(0)
	v_mul_f32_e32 v157, v146, v172
	v_mul_f32_e32 v242, v145, v172
	s_waitcnt vmcnt(2)
	v_mul_f32_e32 v172, v147, v177
	v_fma_f32 v241, v145, v171, -v157
	v_mul_f32_e32 v145, v148, v177
	v_fmac_f32_e32 v242, v146, v171
	v_fmac_f32_e32 v172, v148, v176
	v_fma_f32 v171, v147, v176, -v145
	ds_read2_b64 v[145:148], v130 offset0:110 offset1:191
	s_waitcnt vmcnt(1) lgkmcnt(0)
	v_mul_f32_e32 v157, v146, v238
	v_mul_f32_e32 v177, v145, v238
	v_fma_f32 v176, v145, v237, -v157
	v_fmac_f32_e32 v177, v146, v237
	s_waitcnt vmcnt(0)
	v_mul_f32_e32 v145, v148, v240
	v_mul_f32_e32 v146, v147, v240
	v_fma_f32 v145, v147, v239, -v145
	v_fmac_f32_e32 v146, v148, v239
	global_load_dwordx2 v[147:148], v[167:168], off offset:904
	ds_read_b64 v[167:168], v223 offset:10368
	s_waitcnt vmcnt(0) lgkmcnt(0)
	v_mul_f32_e32 v157, v168, v148
	v_mul_f32_e32 v238, v167, v148
	v_fma_f32 v237, v167, v147, -v157
	v_fmac_f32_e32 v238, v168, v147
	ds_write2_b64 v223, v[122:123], v[151:152] offset0:162 offset1:243
	ds_write2_b64 v144, v[163:164], v[149:150] offset0:68 offset1:149
	;; [unrolled: 1-line block ×7, first 2 shown]
	ds_write_b64 v223, v[237:238] offset:10368
	s_and_saveexec_b32 s1, vcc_lo
	s_cbranch_execz .LBB0_9
; %bb.8:
	s_clause 0x1
	global_load_dwordx2 v[122:123], v[116:117], off offset:408
	global_load_dwordx2 v[149:150], v[116:117], off offset:1056
	v_add_co_u32 v145, s0, 0x800, v116
	v_add_co_ci_u32_e64 v146, s0, 0, v117, s0
	v_add_co_u32 v147, s0, 0x1000, v116
	v_add_co_ci_u32_e64 v148, s0, 0, v117, s0
	s_clause 0x5
	global_load_dwordx2 v[171:172], v[116:117], off offset:1704
	global_load_dwordx2 v[176:177], v[145:146], off offset:304
	;; [unrolled: 1-line block ×6, first 2 shown]
	v_add_co_u32 v145, s0, 0x1800, v116
	v_add_co_ci_u32_e64 v146, s0, 0, v117, s0
	s_clause 0x3
	global_load_dwordx2 v[249:250], v[147:148], off offset:1496
	global_load_dwordx2 v[251:252], v[145:146], off offset:96
	;; [unrolled: 1-line block ×4, first 2 shown]
	v_add_co_u32 v147, s0, 0x2000, v116
	v_add_co_ci_u32_e64 v148, s0, 0, v117, s0
	v_add_co_u32 v116, s0, 0x2800, v116
	v_add_co_ci_u32_e64 v117, s0, 0, v117, s0
	s_clause 0x4
	global_load_dwordx2 v[229:230], v[145:146], off offset:2040
	global_load_dwordx2 v[231:232], v[147:148], off offset:640
	;; [unrolled: 1-line block ×5, first 2 shown]
	ds_read2_b64 v[145:148], v223 offset0:51 offset1:132
	v_add_nc_u32_e32 v225, 0x400, v223
	v_add_nc_u32_e32 v255, 0x1400, v223
	s_waitcnt vmcnt(16) lgkmcnt(0)
	v_mul_f32_e32 v152, v146, v123
	v_mul_f32_e32 v151, v145, v123
	s_waitcnt vmcnt(15)
	v_mul_f32_e32 v153, v148, v150
	v_mul_f32_e32 v123, v147, v150
	v_fma_f32 v150, v145, v122, -v152
	v_fmac_f32_e32 v151, v146, v122
	v_fma_f32 v122, v147, v149, -v153
	v_fmac_f32_e32 v123, v148, v149
	ds_write2_b64 v223, v[150:151], v[122:123] offset0:51 offset1:132
	ds_read2_b64 v[145:148], v225 offset0:85 offset1:166
	ds_read2_b64 v[149:152], v144 offset0:119 offset1:200
	;; [unrolled: 1-line block ×7, first 2 shown]
	ds_read_b64 v[122:123], v223 offset:10776
	s_waitcnt vmcnt(14) lgkmcnt(7)
	v_mul_f32_e32 v157, v146, v172
	v_mul_f32_e32 v181, v145, v172
	s_waitcnt vmcnt(13)
	v_mul_f32_e32 v172, v147, v177
	v_mul_f32_e32 v175, v148, v177
	s_waitcnt vmcnt(12) lgkmcnt(6)
	v_mul_f32_e32 v235, v150, v242
	v_fma_f32 v180, v145, v171, -v157
	v_mul_f32_e32 v177, v149, v242
	v_fmac_f32_e32 v181, v146, v171
	s_waitcnt vmcnt(11)
	v_mul_f32_e32 v145, v152, v244
	v_mul_f32_e32 v146, v151, v244
	v_fmac_f32_e32 v172, v148, v176
	s_waitcnt vmcnt(10) lgkmcnt(5)
	v_mul_f32_e32 v148, v153, v246
	v_fma_f32 v171, v147, v176, -v175
	s_waitcnt vmcnt(9)
	v_mul_f32_e32 v175, v156, v248
	v_fma_f32 v176, v149, v241, -v235
	s_waitcnt vmcnt(8) lgkmcnt(4)
	v_mul_f32_e32 v149, v160, v250
	v_fmac_f32_e32 v177, v150, v241
	v_mul_f32_e32 v150, v159, v250
	v_fma_f32 v145, v151, v243, -v145
	s_waitcnt vmcnt(7)
	v_mul_f32_e32 v151, v162, v252
	v_fmac_f32_e32 v146, v152, v243
	v_mul_f32_e32 v152, v161, v252
	v_mul_f32_e32 v147, v154, v246
	;; [unrolled: 1-line block ×3, first 2 shown]
	s_waitcnt vmcnt(6) lgkmcnt(3)
	v_mul_f32_e32 v235, v164, v254
	v_mul_f32_e32 v157, v163, v254
	s_waitcnt vmcnt(5)
	v_mul_f32_e32 v243, v166, v228
	v_fmac_f32_e32 v148, v154, v245
	v_mul_f32_e32 v154, v165, v228
	s_waitcnt vmcnt(4) lgkmcnt(2)
	v_mul_f32_e32 v244, v168, v230
	v_fma_f32 v241, v155, v247, -v175
	v_mul_f32_e32 v175, v167, v230
	s_waitcnt vmcnt(3)
	v_mul_f32_e32 v155, v170, v232
	v_mul_f32_e32 v228, v169, v232
	s_waitcnt vmcnt(2) lgkmcnt(1)
	v_mul_f32_e32 v232, v238, v234
	v_fma_f32 v149, v159, v249, -v149
	v_mul_f32_e32 v230, v237, v234
	v_fmac_f32_e32 v150, v160, v249
	s_waitcnt vmcnt(1)
	v_mul_f32_e32 v159, v240, v174
	v_fma_f32 v151, v161, v251, -v151
	v_mul_f32_e32 v160, v239, v174
	v_fmac_f32_e32 v152, v162, v251
	s_waitcnt vmcnt(0) lgkmcnt(0)
	v_mul_f32_e32 v161, v123, v117
	v_mul_f32_e32 v162, v122, v117
	v_fma_f32 v147, v153, v245, -v147
	v_fmac_f32_e32 v242, v156, v247
	v_fma_f32 v156, v163, v253, -v235
	v_fmac_f32_e32 v157, v164, v253
	;; [unrolled: 2-line block ×8, first 2 shown]
	ds_write2_b64 v225, v[180:181], v[171:172] offset0:85 offset1:166
	ds_write2_b64 v144, v[176:177], v[145:146] offset0:119 offset1:200
	;; [unrolled: 1-line block ×7, first 2 shown]
	ds_write_b64 v223, v[161:162] offset:10776
.LBB0_9:
	s_or_b32 exec_lo, exec_lo, s1
	s_waitcnt lgkmcnt(0)
	s_barrier
	buffer_gl0_inv
	ds_read2_b64 v[162:165], v223 offset1:81
	ds_read2_b64 v[170:173], v223 offset0:162 offset1:243
	ds_read2_b64 v[154:157], v144 offset0:68 offset1:149
	;; [unrolled: 1-line block ×7, first 2 shown]
	ds_read_b64 v[116:117], v223 offset:10368
	s_and_saveexec_b32 s0, vcc_lo
	s_cbranch_execz .LBB0_11
; %bb.10:
	v_add_nc_u32_e32 v0, 0x1000, v223
	v_add_nc_u32_e32 v1, 0x1400, v223
	;; [unrolled: 1-line block ×4, first 2 shown]
	ds_read2_b64 v[130:133], v223 offset0:51 offset1:132
	ds_read2_b64 v[122:125], v0 offset0:25 offset1:106
	;; [unrolled: 1-line block ×3, first 2 shown]
	v_add_nc_u32_e32 v0, 0x1800, v223
	v_add_nc_u32_e32 v1, 0x1c00, v223
	ds_read2_b64 v[134:137], v2 offset0:85 offset1:166
	v_add_nc_u32_e32 v2, 0x2000, v223
	ds_read2_b64 v[138:141], v3 offset0:119 offset1:200
	ds_read2_b64 v[8:11], v0 offset0:93 offset1:174
	;; [unrolled: 1-line block ×3, first 2 shown]
	ds_read_b64 v[221:222], v223 offset:10776
	ds_read2_b64 v[0:3], v2 offset0:161 offset1:242
	s_waitcnt lgkmcnt(8)
	v_mov_b32_e32 v118, v130
	s_waitcnt lgkmcnt(6)
	v_mov_b32_e32 v120, v128
	v_mov_b32_e32 v121, v129
	;; [unrolled: 1-line block ×5, first 2 shown]
.LBB0_11:
	s_or_b32 exec_lo, exec_lo, s0
	s_waitcnt lgkmcnt(8)
	v_add_f32_e32 v122, v162, v164
	v_add_f32_e32 v123, v163, v165
	s_waitcnt lgkmcnt(0)
	v_sub_f32_e32 v131, v165, v117
	v_add_f32_e32 v165, v117, v165
	v_add_f32_e32 v130, v116, v164
	;; [unrolled: 1-line block ×4, first 2 shown]
	v_sub_f32_e32 v164, v164, v116
	v_mul_f32_e32 v180, 0xbeb8f4ab, v131
	v_mul_f32_e32 v181, 0x3f6eb680, v165
	v_add_f32_e32 v122, v122, v172
	v_add_f32_e32 v123, v123, v173
	v_mul_f32_e32 v225, 0xbf2c7751, v131
	v_mul_f32_e32 v227, 0x3f3d2fb0, v165
	v_mul_f32_e32 v228, 0xbf65296c, v131
	v_add_f32_e32 v122, v122, v154
	v_add_f32_e32 v123, v123, v155
	v_mul_f32_e32 v229, 0x3ee437d1, v165
	v_mul_f32_e32 v230, 0xbf7ee86f, v131
	v_mul_f32_e32 v231, 0x3dbcf732, v165
	v_add_f32_e32 v122, v122, v156
	v_add_f32_e32 v123, v123, v157
	v_mul_f32_e32 v232, 0xbf763a35, v131
	v_mul_f32_e32 v234, 0xbf4c4adb, v131
	v_mul_f32_e32 v245, 0xbf06c442, v131
	v_add_f32_e32 v122, v122, v146
	v_add_f32_e32 v123, v123, v147
	v_mul_f32_e32 v131, 0xbe3c28d5, v131
	v_sub_f32_e32 v174, v171, v169
	v_mul_f32_e32 v233, 0xbe8c1d8e, v165
	v_add_f32_e32 v122, v122, v148
	v_add_f32_e32 v123, v123, v149
	v_mul_f32_e32 v235, 0xbf1a4643, v165
	v_fmamk_f32 v237, v130, 0x3f6eb680, v180
	v_fmamk_f32 v238, v164, 0x3eb8f4ab, v181
	v_add_f32_e32 v122, v122, v142
	v_add_f32_e32 v123, v123, v143
	v_fmamk_f32 v239, v130, 0x3f3d2fb0, v225
	v_fmamk_f32 v240, v164, 0x3f2c7751, v227
	;; [unrolled: 1-line block ×3, first 2 shown]
	v_add_f32_e32 v122, v122, v144
	v_add_f32_e32 v123, v123, v145
	v_fmamk_f32 v242, v164, 0x3f65296c, v229
	v_fmamk_f32 v243, v130, 0x3dbcf732, v230
	v_fmamk_f32 v244, v164, 0x3f7ee86f, v231
	v_add_f32_e32 v122, v122, v150
	v_add_f32_e32 v123, v123, v151
	v_mul_f32_e32 v246, 0xbf59a7d5, v165
	v_fmamk_f32 v247, v130, 0xbf59a7d5, v245
	v_mul_f32_e32 v165, 0xbf7ba420, v165
	v_add_f32_e32 v122, v122, v152
	v_add_f32_e32 v123, v123, v153
	v_fmamk_f32 v248, v130, 0xbf7ba420, v131
	v_add_f32_e32 v171, v169, v171
	v_add_f32_e32 v175, v168, v170
	v_add_f32_e32 v122, v122, v158
	v_add_f32_e32 v123, v123, v159
	v_sub_f32_e32 v170, v170, v168
	v_sub_f32_e32 v176, v173, v167
	v_add_f32_e32 v177, v166, v172
	v_add_f32_e32 v122, v122, v160
	v_add_f32_e32 v123, v123, v161
	v_add_f32_e32 v173, v167, v173
	v_sub_f32_e32 v172, v172, v166
	v_fma_f32 v180, 0x3f6eb680, v130, -v180
	v_add_f32_e32 v122, v122, v166
	v_add_f32_e32 v123, v123, v167
	v_fmac_f32_e32 v181, 0xbeb8f4ab, v164
	v_fma_f32 v225, 0x3f3d2fb0, v130, -v225
	v_fmac_f32_e32 v227, 0xbf2c7751, v164
	v_fma_f32 v228, 0x3ee437d1, v130, -v228
	;; [unrolled: 2-line block ×3, first 2 shown]
	v_fmac_f32_e32 v231, 0xbf7ee86f, v164
	v_fmamk_f32 v167, v130, 0xbe8c1d8e, v232
	v_add_f32_e32 v122, v122, v168
	v_add_f32_e32 v123, v123, v169
	v_fmamk_f32 v168, v164, 0x3f763a35, v233
	v_fma_f32 v169, 0xbe8c1d8e, v130, -v232
	v_fmac_f32_e32 v233, 0xbf763a35, v164
	v_fmamk_f32 v230, v130, 0xbf1a4643, v234
	v_fmamk_f32 v232, v164, 0x3f4c4adb, v235
	v_fma_f32 v234, 0xbf1a4643, v130, -v234
	v_fmac_f32_e32 v235, 0xbf4c4adb, v164
	v_fma_f32 v245, 0xbf59a7d5, v130, -v245
	v_fma_f32 v130, 0xbf7ba420, v130, -v131
	v_fmamk_f32 v131, v164, 0x3f06c442, v246
	v_fmac_f32_e32 v246, 0xbf06c442, v164
	v_fmamk_f32 v249, v164, 0x3e3c28d5, v165
	v_fmac_f32_e32 v165, 0xbe3c28d5, v164
	v_add_f32_e32 v164, v162, v237
	v_add_f32_e32 v237, v163, v238
	;; [unrolled: 1-line block ×10, first 2 shown]
	v_mul_f32_e32 v248, 0xbf2c7751, v174
	v_add_f32_e32 v180, v162, v180
	v_add_f32_e32 v181, v163, v181
	;; [unrolled: 1-line block ×21, first 2 shown]
	v_mul_f32_e32 v162, 0x3f3d2fb0, v171
	v_add_f32_e32 v163, v163, v165
	v_fmamk_f32 v165, v175, 0x3f3d2fb0, v248
	v_add_f32_e32 v116, v122, v116
	v_add_f32_e32 v117, v123, v117
	v_fmamk_f32 v122, v170, 0x3f2c7751, v162
	v_mul_f32_e32 v123, 0xbf7ee86f, v174
	v_add_f32_e32 v164, v165, v164
	v_fma_f32 v165, 0x3f3d2fb0, v175, -v248
	v_fmac_f32_e32 v162, 0xbf2c7751, v170
	v_add_f32_e32 v122, v122, v237
	v_fmamk_f32 v237, v175, 0x3dbcf732, v123
	v_mul_f32_e32 v248, 0x3dbcf732, v171
	v_add_f32_e32 v165, v165, v180
	v_mul_f32_e32 v180, 0xbf4c4adb, v174
	v_add_f32_e32 v162, v162, v181
	v_add_f32_e32 v181, v237, v238
	v_fmamk_f32 v237, v170, 0x3f7ee86f, v248
	v_fma_f32 v123, 0x3dbcf732, v175, -v123
	v_fmac_f32_e32 v248, 0xbf7ee86f, v170
	v_fmamk_f32 v238, v175, 0xbf1a4643, v180
	v_mul_f32_e32 v250, 0xbf1a4643, v171
	v_add_f32_e32 v237, v237, v239
	v_add_f32_e32 v123, v123, v225
	;; [unrolled: 1-line block ×4, first 2 shown]
	v_fmamk_f32 v238, v170, 0x3f4c4adb, v250
	v_mul_f32_e32 v239, 0xbe3c28d5, v174
	v_fma_f32 v180, 0xbf1a4643, v175, -v180
	v_fmac_f32_e32 v250, 0xbf4c4adb, v170
	v_mul_f32_e32 v240, 0xbf7ba420, v171
	v_add_f32_e32 v238, v238, v241
	v_fmamk_f32 v241, v175, 0xbf7ba420, v239
	v_add_f32_e32 v180, v180, v228
	v_add_f32_e32 v228, v250, v229
	v_fmamk_f32 v229, v170, 0x3e3c28d5, v240
	v_mul_f32_e32 v248, 0x3f06c442, v174
	v_add_f32_e32 v241, v241, v242
	v_fmac_f32_e32 v240, 0xbe3c28d5, v170
	v_fma_f32 v239, 0xbf7ba420, v175, -v239
	v_add_f32_e32 v229, v229, v243
	v_fmamk_f32 v242, v175, 0xbf59a7d5, v248
	v_mul_f32_e32 v243, 0xbf59a7d5, v171
	v_add_f32_e32 v231, v240, v231
	v_mul_f32_e32 v250, 0xbe8c1d8e, v171
	v_add_f32_e32 v166, v239, v166
	v_add_f32_e32 v167, v242, v167
	v_fmamk_f32 v240, v170, 0xbf06c442, v243
	v_fma_f32 v242, 0xbf59a7d5, v175, -v248
	v_mul_f32_e32 v239, 0x3f763a35, v174
	v_fmac_f32_e32 v243, 0x3f06c442, v170
	v_add_f32_e32 v168, v240, v168
	v_add_f32_e32 v169, v242, v169
	v_fmamk_f32 v240, v170, 0xbf763a35, v250
	v_mul_f32_e32 v242, 0x3f65296c, v174
	v_fmamk_f32 v248, v175, 0xbe8c1d8e, v239
	v_add_f32_e32 v233, v243, v233
	v_fma_f32 v239, 0xbe8c1d8e, v175, -v239
	v_mul_f32_e32 v243, 0x3ee437d1, v171
	v_add_f32_e32 v232, v240, v232
	v_fmamk_f32 v240, v175, 0x3ee437d1, v242
	v_mul_f32_e32 v174, 0x3eb8f4ab, v174
	v_add_f32_e32 v234, v239, v234
	v_fmamk_f32 v239, v170, 0xbf65296c, v243
	v_fma_f32 v242, 0x3ee437d1, v175, -v242
	v_add_f32_e32 v240, v240, v244
	v_mul_f32_e32 v171, 0x3f6eb680, v171
	v_mul_f32_e32 v244, 0xbf65296c, v176
	v_fmac_f32_e32 v250, 0x3f763a35, v170
	v_fmac_f32_e32 v243, 0x3f65296c, v170
	v_add_f32_e32 v131, v239, v131
	v_fmamk_f32 v239, v175, 0x3f6eb680, v174
	v_add_f32_e32 v242, v242, v245
	v_fmamk_f32 v245, v170, 0xbeb8f4ab, v171
	v_fma_f32 v174, 0x3f6eb680, v175, -v174
	v_fmac_f32_e32 v171, 0x3eb8f4ab, v170
	v_fmamk_f32 v170, v177, 0x3ee437d1, v244
	v_mul_f32_e32 v175, 0x3ee437d1, v173
	v_add_f32_e32 v243, v243, v246
	v_add_f32_e32 v130, v174, v130
	;; [unrolled: 1-line block ×4, first 2 shown]
	v_fmamk_f32 v170, v172, 0x3f65296c, v175
	v_mul_f32_e32 v171, 0xbf4c4adb, v176
	v_fma_f32 v174, 0x3ee437d1, v177, -v244
	v_fmac_f32_e32 v175, 0xbf65296c, v172
	v_mul_f32_e32 v244, 0xbf1a4643, v173
	v_add_f32_e32 v122, v170, v122
	v_fmamk_f32 v170, v177, 0xbf1a4643, v171
	v_add_f32_e32 v165, v174, v165
	v_add_f32_e32 v162, v175, v162
	v_fmamk_f32 v174, v172, 0x3f4c4adb, v244
	v_mul_f32_e32 v175, 0x3e3c28d5, v176
	v_fma_f32 v171, 0xbf1a4643, v177, -v171
	v_fmac_f32_e32 v244, 0xbf4c4adb, v172
	v_add_f32_e32 v170, v170, v181
	v_add_f32_e32 v174, v174, v237
	v_fmamk_f32 v181, v177, 0xbf7ba420, v175
	v_mul_f32_e32 v237, 0xbf7ba420, v173
	v_add_f32_e32 v123, v171, v123
	v_add_f32_e32 v171, v244, v225
	v_mul_f32_e32 v225, 0x3f763a35, v176
	v_add_f32_e32 v181, v181, v227
	v_fmamk_f32 v227, v172, 0xbe3c28d5, v237
	v_fma_f32 v175, 0xbf7ba420, v177, -v175
	v_fmac_f32_e32 v237, 0x3e3c28d5, v172
	v_fmamk_f32 v244, v177, 0xbe8c1d8e, v225
	v_mul_f32_e32 v246, 0xbe8c1d8e, v173
	v_add_f32_e32 v227, v227, v238
	v_add_f32_e32 v175, v175, v180
	;; [unrolled: 1-line block ×4, first 2 shown]
	v_fmamk_f32 v237, v172, 0xbf763a35, v246
	v_mul_f32_e32 v238, 0x3f2c7751, v176
	v_fma_f32 v225, 0xbe8c1d8e, v177, -v225
	v_fmac_f32_e32 v246, 0x3f763a35, v172
	v_mul_f32_e32 v241, 0x3f3d2fb0, v173
	v_add_f32_e32 v229, v237, v229
	v_fmamk_f32 v237, v177, 0x3f3d2fb0, v238
	v_add_f32_e32 v166, v225, v166
	v_add_f32_e32 v225, v246, v231
	v_fmamk_f32 v231, v172, 0xbf2c7751, v241
	v_mul_f32_e32 v244, 0xbeb8f4ab, v176
	v_add_f32_e32 v230, v248, v230
	v_add_f32_e32 v167, v237, v167
	v_fma_f32 v237, 0x3f3d2fb0, v177, -v238
	v_fmac_f32_e32 v241, 0x3f2c7751, v172
	v_add_f32_e32 v168, v231, v168
	v_fmamk_f32 v231, v177, 0x3f6eb680, v244
	v_mul_f32_e32 v238, 0x3f6eb680, v173
	v_add_f32_e32 v235, v250, v235
	v_add_f32_e32 v169, v237, v169
	;; [unrolled: 1-line block ×3, first 2 shown]
	v_mul_f32_e32 v237, 0xbf7ee86f, v176
	v_add_f32_e32 v230, v231, v230
	v_fmamk_f32 v231, v172, 0x3eb8f4ab, v238
	v_fma_f32 v241, 0x3f6eb680, v177, -v244
	v_fmac_f32_e32 v238, 0xbeb8f4ab, v172
	v_mul_f32_e32 v246, 0x3dbcf732, v173
	v_fmamk_f32 v244, v177, 0x3dbcf732, v237
	v_add_f32_e32 v231, v231, v232
	v_add_f32_e32 v232, v241, v234
	;; [unrolled: 1-line block ×3, first 2 shown]
	v_fmamk_f32 v238, v172, 0x3f7ee86f, v246
	v_mul_f32_e32 v176, 0xbf06c442, v176
	v_mul_f32_e32 v173, 0xbf59a7d5, v173
	v_fma_f32 v237, 0x3dbcf732, v177, -v237
	v_add_f32_e32 v239, v239, v247
	v_add_f32_e32 v245, v245, v249
	;; [unrolled: 1-line block ×4, first 2 shown]
	v_fmamk_f32 v238, v177, 0xbf59a7d5, v176
	v_fmamk_f32 v240, v172, 0x3f06c442, v173
	v_add_f32_e32 v237, v237, v242
	v_sub_f32_e32 v242, v155, v161
	v_add_f32_e32 v155, v161, v155
	v_add_f32_e32 v238, v238, v239
	;; [unrolled: 1-line block ×4, first 2 shown]
	v_mul_f32_e32 v161, 0xbf7ee86f, v242
	v_fma_f32 v176, 0xbf59a7d5, v177, -v176
	v_fmac_f32_e32 v173, 0xbf06c442, v172
	v_sub_f32_e32 v154, v154, v160
	v_mul_f32_e32 v160, 0x3dbcf732, v155
	v_fmac_f32_e32 v246, 0xbf7ee86f, v172
	v_fmamk_f32 v172, v240, 0x3dbcf732, v161
	v_add_f32_e32 v130, v176, v130
	v_add_f32_e32 v163, v173, v163
	v_mul_f32_e32 v173, 0xbe3c28d5, v242
	v_fmamk_f32 v176, v154, 0x3f7ee86f, v160
	v_fma_f32 v161, 0x3dbcf732, v240, -v161
	v_add_f32_e32 v164, v172, v164
	v_fmac_f32_e32 v160, 0xbf7ee86f, v154
	v_fmamk_f32 v172, v240, 0xbf7ba420, v173
	v_add_f32_e32 v122, v176, v122
	v_mul_f32_e32 v176, 0xbf7ba420, v155
	v_add_f32_e32 v161, v161, v165
	v_mul_f32_e32 v165, 0x3f763a35, v242
	v_add_f32_e32 v160, v160, v162
	v_add_f32_e32 v162, v172, v170
	v_fmamk_f32 v170, v154, 0x3e3c28d5, v176
	v_fma_f32 v172, 0xbf7ba420, v240, -v173
	v_fmac_f32_e32 v176, 0xbe3c28d5, v154
	v_mul_f32_e32 v173, 0xbe8c1d8e, v155
	v_fmamk_f32 v177, v240, 0xbe8c1d8e, v165
	v_add_f32_e32 v170, v170, v174
	v_add_f32_e32 v123, v172, v123
	;; [unrolled: 1-line block ×3, first 2 shown]
	v_fmamk_f32 v172, v154, 0xbf763a35, v173
	v_add_f32_e32 v174, v177, v181
	v_mul_f32_e32 v176, 0x3eb8f4ab, v242
	v_fma_f32 v165, 0xbe8c1d8e, v240, -v165
	v_fmac_f32_e32 v173, 0x3f763a35, v154
	v_mul_f32_e32 v177, 0x3f6eb680, v155
	v_add_f32_e32 v172, v172, v227
	v_fmamk_f32 v181, v240, 0x3f6eb680, v176
	v_add_f32_e32 v165, v165, v175
	v_add_f32_e32 v173, v173, v180
	v_mul_f32_e32 v175, 0xbf65296c, v242
	v_fmamk_f32 v180, v154, 0xbeb8f4ab, v177
	v_fma_f32 v176, 0x3f6eb680, v240, -v176
	v_fmac_f32_e32 v177, 0x3eb8f4ab, v154
	v_add_f32_e32 v181, v181, v228
	v_fmamk_f32 v227, v240, 0x3ee437d1, v175
	v_mul_f32_e32 v228, 0x3ee437d1, v155
	v_add_f32_e32 v166, v176, v166
	v_add_f32_e32 v176, v177, v225
	v_mul_f32_e32 v177, 0xbf06c442, v242
	v_add_f32_e32 v180, v180, v229
	v_add_f32_e32 v167, v227, v167
	v_fmamk_f32 v225, v154, 0x3f65296c, v228
	v_fma_f32 v175, 0x3ee437d1, v240, -v175
	v_fmac_f32_e32 v228, 0xbf65296c, v154
	v_mul_f32_e32 v227, 0xbf59a7d5, v155
	v_fmamk_f32 v229, v240, 0xbf59a7d5, v177
	v_fma_f32 v177, 0xbf59a7d5, v240, -v177
	v_add_f32_e32 v168, v225, v168
	v_add_f32_e32 v169, v175, v169
	;; [unrolled: 1-line block ×3, first 2 shown]
	v_fmamk_f32 v225, v154, 0x3f06c442, v227
	v_add_f32_e32 v228, v229, v230
	v_fmac_f32_e32 v227, 0xbf06c442, v154
	v_mul_f32_e32 v230, 0xbf1a4643, v155
	v_add_f32_e32 v177, v177, v232
	v_mul_f32_e32 v232, 0x3f2c7751, v242
	v_mul_f32_e32 v229, 0x3f4c4adb, v242
	v_add_f32_e32 v227, v227, v234
	v_fmamk_f32 v233, v154, 0xbf4c4adb, v230
	v_add_f32_e32 v225, v225, v231
	v_fmamk_f32 v234, v240, 0x3f3d2fb0, v232
	v_fmamk_f32 v231, v240, 0xbf1a4643, v229
	v_fma_f32 v229, 0xbf1a4643, v240, -v229
	v_add_f32_e32 v131, v233, v131
	v_mul_f32_e32 v155, 0x3f3d2fb0, v155
	v_add_f32_e32 v233, v234, v238
	v_sub_f32_e32 v234, v157, v159
	v_add_f32_e32 v157, v159, v157
	v_add_f32_e32 v231, v231, v235
	v_fmac_f32_e32 v230, 0x3f4c4adb, v154
	v_add_f32_e32 v229, v229, v237
	v_fmamk_f32 v235, v154, 0xbf2c7751, v155
	v_fma_f32 v232, 0x3f3d2fb0, v240, -v232
	v_add_f32_e32 v159, v158, v156
	v_mul_f32_e32 v237, 0xbf763a35, v234
	v_fmac_f32_e32 v155, 0x3f2c7751, v154
	v_sub_f32_e32 v154, v156, v158
	v_mul_f32_e32 v156, 0xbe8c1d8e, v157
	v_add_f32_e32 v158, v235, v239
	v_fmamk_f32 v235, v159, 0xbe8c1d8e, v237
	v_add_f32_e32 v130, v232, v130
	v_add_f32_e32 v155, v155, v163
	v_fmamk_f32 v163, v154, 0x3f763a35, v156
	v_mul_f32_e32 v232, 0x3f06c442, v234
	v_fmac_f32_e32 v156, 0xbf763a35, v154
	v_add_f32_e32 v164, v235, v164
	v_fma_f32 v235, 0xbe8c1d8e, v159, -v237
	v_add_f32_e32 v122, v163, v122
	v_fmamk_f32 v163, v159, 0xbf59a7d5, v232
	v_mul_f32_e32 v237, 0xbf59a7d5, v157
	v_add_f32_e32 v156, v156, v160
	v_mul_f32_e32 v160, 0x3f2c7751, v234
	v_add_f32_e32 v161, v235, v161
	v_add_f32_e32 v162, v163, v162
	v_fmamk_f32 v163, v154, 0xbf06c442, v237
	v_fma_f32 v232, 0xbf59a7d5, v159, -v232
	v_fmac_f32_e32 v237, 0x3f06c442, v154
	v_fmamk_f32 v235, v159, 0x3f3d2fb0, v160
	v_mul_f32_e32 v238, 0x3f3d2fb0, v157
	v_add_f32_e32 v163, v163, v170
	v_add_f32_e32 v123, v232, v123
	;; [unrolled: 1-line block ×4, first 2 shown]
	v_fmamk_f32 v174, v154, 0xbf2c7751, v238
	v_mul_f32_e32 v232, 0xbf65296c, v234
	v_fma_f32 v160, 0x3f3d2fb0, v159, -v160
	v_fmac_f32_e32 v238, 0x3f2c7751, v154
	v_mul_f32_e32 v235, 0x3ee437d1, v157
	v_add_f32_e32 v172, v174, v172
	v_fmamk_f32 v174, v159, 0x3ee437d1, v232
	v_add_f32_e32 v160, v160, v165
	v_add_f32_e32 v165, v238, v173
	v_fmamk_f32 v173, v154, 0x3f65296c, v235
	v_mul_f32_e32 v237, 0xbe3c28d5, v234
	v_add_f32_e32 v174, v174, v181
	v_fma_f32 v181, 0x3ee437d1, v159, -v232
	v_fmac_f32_e32 v235, 0xbf65296c, v154
	v_add_f32_e32 v173, v173, v180
	v_fmamk_f32 v180, v159, 0xbf7ba420, v237
	v_mul_f32_e32 v232, 0xbf7ba420, v157
	v_add_f32_e32 v166, v181, v166
	v_mul_f32_e32 v181, 0x3f7ee86f, v234
	v_add_f32_e32 v176, v235, v176
	v_add_f32_e32 v167, v180, v167
	v_fmamk_f32 v180, v154, 0x3e3c28d5, v232
	v_fma_f32 v235, 0xbf7ba420, v159, -v237
	v_fmac_f32_e32 v232, 0xbe3c28d5, v154
	v_fmamk_f32 v237, v159, 0x3dbcf732, v181
	v_mul_f32_e32 v238, 0x3dbcf732, v157
	v_add_f32_e32 v168, v180, v168
	v_add_f32_e32 v169, v235, v169
	;; [unrolled: 1-line block ×4, first 2 shown]
	v_fmamk_f32 v228, v154, 0xbf7ee86f, v238
	v_mul_f32_e32 v232, 0xbeb8f4ab, v234
	v_fma_f32 v181, 0x3dbcf732, v159, -v181
	v_mul_f32_e32 v235, 0x3f6eb680, v157
	v_add_f32_e32 v241, v246, v243
	v_add_f32_e32 v225, v228, v225
	v_fmamk_f32 v228, v159, 0x3f6eb680, v232
	v_add_f32_e32 v177, v181, v177
	v_fmamk_f32 v181, v154, 0x3eb8f4ab, v235
	v_mul_f32_e32 v234, 0xbf4c4adb, v234
	v_add_f32_e32 v230, v230, v241
	v_add_f32_e32 v228, v228, v231
	v_fma_f32 v231, 0x3f6eb680, v159, -v232
	v_add_f32_e32 v131, v181, v131
	v_fmac_f32_e32 v235, 0xbeb8f4ab, v154
	v_fmamk_f32 v181, v159, 0xbf1a4643, v234
	v_mul_f32_e32 v157, 0xbf1a4643, v157
	v_add_f32_e32 v229, v231, v229
	v_sub_f32_e32 v231, v147, v153
	v_add_f32_e32 v230, v235, v230
	v_add_f32_e32 v181, v181, v233
	;; [unrolled: 1-line block ×4, first 2 shown]
	v_mul_f32_e32 v235, 0xbf4c4adb, v231
	v_fmac_f32_e32 v238, 0x3f7ee86f, v154
	v_fmamk_f32 v232, v154, 0x3f4c4adb, v157
	v_fma_f32 v153, 0xbf1a4643, v159, -v234
	v_fmac_f32_e32 v157, 0xbf4c4adb, v154
	v_sub_f32_e32 v146, v146, v152
	v_fmamk_f32 v152, v233, 0xbf1a4643, v235
	v_mul_f32_e32 v154, 0xbf1a4643, v147
	v_add_f32_e32 v130, v153, v130
	v_add_f32_e32 v153, v157, v155
	v_mul_f32_e32 v157, 0x3f763a35, v231
	v_add_f32_e32 v152, v152, v164
	v_fmamk_f32 v155, v146, 0x3f4c4adb, v154
	v_fma_f32 v159, 0xbf1a4643, v233, -v235
	v_fmac_f32_e32 v154, 0xbf4c4adb, v146
	v_mul_f32_e32 v164, 0xbe8c1d8e, v147
	v_add_f32_e32 v158, v232, v158
	v_add_f32_e32 v122, v155, v122
	v_fmamk_f32 v155, v233, 0xbe8c1d8e, v157
	v_add_f32_e32 v159, v159, v161
	v_add_f32_e32 v154, v154, v156
	v_fmamk_f32 v156, v146, 0xbf763a35, v164
	v_mul_f32_e32 v161, 0xbeb8f4ab, v231
	v_fma_f32 v157, 0xbe8c1d8e, v233, -v157
	v_fmac_f32_e32 v164, 0x3f763a35, v146
	v_add_f32_e32 v155, v155, v162
	v_add_f32_e32 v156, v156, v163
	v_fmamk_f32 v162, v233, 0x3f6eb680, v161
	v_mul_f32_e32 v163, 0x3f6eb680, v147
	v_add_f32_e32 v123, v157, v123
	v_add_f32_e32 v157, v164, v170
	v_mul_f32_e32 v164, 0xbf06c442, v231
	v_add_f32_e32 v162, v162, v171
	v_fmamk_f32 v170, v146, 0x3eb8f4ab, v163
	v_fma_f32 v161, 0x3f6eb680, v233, -v161
	v_fmac_f32_e32 v163, 0xbeb8f4ab, v146
	v_fmamk_f32 v171, v233, 0xbf59a7d5, v164
	v_mul_f32_e32 v232, 0xbf59a7d5, v147
	v_add_f32_e32 v170, v170, v172
	v_add_f32_e32 v160, v161, v160
	;; [unrolled: 1-line block ×4, first 2 shown]
	v_fmamk_f32 v165, v146, 0x3f06c442, v232
	v_mul_f32_e32 v171, 0x3f7ee86f, v231
	v_fma_f32 v164, 0xbf59a7d5, v233, -v164
	v_fmac_f32_e32 v232, 0xbf06c442, v146
	v_mul_f32_e32 v172, 0x3dbcf732, v147
	v_add_f32_e32 v165, v165, v173
	v_fmamk_f32 v173, v233, 0x3dbcf732, v171
	v_add_f32_e32 v164, v164, v166
	v_add_f32_e32 v166, v232, v176
	v_fmamk_f32 v174, v146, 0xbf7ee86f, v172
	v_mul_f32_e32 v176, 0xbf2c7751, v231
	v_fma_f32 v171, 0x3dbcf732, v233, -v171
	v_fmac_f32_e32 v172, 0x3f7ee86f, v146
	v_add_f32_e32 v167, v173, v167
	v_add_f32_e32 v168, v174, v168
	v_fmamk_f32 v173, v233, 0x3f3d2fb0, v176
	v_mul_f32_e32 v174, 0x3f3d2fb0, v147
	v_add_f32_e32 v169, v171, v169
	v_add_f32_e32 v171, v172, v175
	v_mul_f32_e32 v172, 0xbe3c28d5, v231
	v_add_f32_e32 v173, v173, v180
	v_fmamk_f32 v175, v146, 0x3f2c7751, v174
	v_fma_f32 v176, 0x3f3d2fb0, v233, -v176
	v_mul_f32_e32 v232, 0xbf7ba420, v147
	v_fmamk_f32 v180, v233, 0xbf7ba420, v172
	v_fma_f32 v172, 0xbf7ba420, v233, -v172
	v_add_f32_e32 v175, v175, v225
	v_add_f32_e32 v176, v176, v177
	v_mul_f32_e32 v225, 0x3f65296c, v231
	v_add_f32_e32 v177, v180, v228
	v_fmamk_f32 v180, v146, 0x3e3c28d5, v232
	v_add_f32_e32 v227, v238, v227
	v_fmac_f32_e32 v174, 0xbf2c7751, v146
	v_mul_f32_e32 v147, 0x3ee437d1, v147
	v_add_f32_e32 v172, v172, v229
	v_add_f32_e32 v131, v180, v131
	v_fmamk_f32 v180, v233, 0x3ee437d1, v225
	v_sub_f32_e32 v229, v149, v151
	v_add_f32_e32 v149, v151, v149
	v_add_f32_e32 v174, v174, v227
	v_fmac_f32_e32 v232, 0xbe3c28d5, v146
	v_fmamk_f32 v227, v146, 0xbf65296c, v147
	v_add_f32_e32 v180, v180, v181
	v_add_f32_e32 v181, v150, v148
	v_mul_f32_e32 v151, 0xbf06c442, v229
	v_fma_f32 v225, 0x3ee437d1, v233, -v225
	v_fmac_f32_e32 v147, 0x3f65296c, v146
	v_sub_f32_e32 v146, v148, v150
	v_mul_f32_e32 v148, 0xbf59a7d5, v149
	v_fmamk_f32 v150, v181, 0xbf59a7d5, v151
	v_add_f32_e32 v130, v225, v130
	v_add_f32_e32 v147, v147, v153
	v_mul_f32_e32 v153, 0x3f65296c, v229
	v_fmamk_f32 v225, v146, 0x3f06c442, v148
	v_add_f32_e32 v150, v150, v152
	v_fma_f32 v151, 0xbf59a7d5, v181, -v151
	v_fmac_f32_e32 v148, 0xbf06c442, v146
	v_fmamk_f32 v152, v181, 0x3ee437d1, v153
	v_add_f32_e32 v225, v225, v122
	v_mul_f32_e32 v122, 0x3ee437d1, v149
	v_add_f32_e32 v151, v151, v159
	v_add_f32_e32 v148, v148, v154
	;; [unrolled: 1-line block ×3, first 2 shown]
	v_mul_f32_e32 v154, 0xbf7ee86f, v229
	v_fmamk_f32 v155, v146, 0xbf65296c, v122
	v_fmac_f32_e32 v122, 0x3f65296c, v146
	v_mul_f32_e32 v159, 0x3dbcf732, v149
	v_add_f32_e32 v158, v227, v158
	v_fma_f32 v153, 0x3ee437d1, v181, -v153
	v_fmamk_f32 v227, v181, 0x3dbcf732, v154
	v_add_f32_e32 v155, v155, v156
	v_add_f32_e32 v156, v122, v157
	v_fmamk_f32 v122, v146, 0x3f7ee86f, v159
	v_add_f32_e32 v153, v153, v123
	v_add_f32_e32 v157, v227, v162
	v_mul_f32_e32 v123, 0x3f4c4adb, v229
	v_fma_f32 v154, 0x3dbcf732, v181, -v154
	v_fmac_f32_e32 v159, 0xbf7ee86f, v146
	v_add_f32_e32 v162, v122, v170
	v_mul_f32_e32 v122, 0xbf1a4643, v149
	v_fmamk_f32 v170, v181, 0xbf1a4643, v123
	v_add_f32_e32 v154, v154, v160
	v_add_f32_e32 v159, v159, v161
	v_mul_f32_e32 v160, 0xbeb8f4ab, v229
	v_fmamk_f32 v161, v146, 0xbf4c4adb, v122
	v_add_f32_e32 v163, v170, v163
	v_fma_f32 v123, 0xbf1a4643, v181, -v123
	v_fmac_f32_e32 v122, 0x3f4c4adb, v146
	v_fmamk_f32 v170, v181, 0x3f6eb680, v160
	v_add_f32_e32 v161, v161, v165
	v_mul_f32_e32 v165, 0x3f6eb680, v149
	v_add_f32_e32 v164, v123, v164
	v_add_f32_e32 v166, v122, v166
	;; [unrolled: 1-line block ×3, first 2 shown]
	v_mul_f32_e32 v122, 0xbe3c28d5, v229
	v_fmamk_f32 v123, v146, 0x3eb8f4ab, v165
	v_mul_f32_e32 v170, 0xbf7ba420, v149
	v_fma_f32 v160, 0x3f6eb680, v181, -v160
	v_fmac_f32_e32 v165, 0xbeb8f4ab, v146
	v_fmamk_f32 v227, v181, 0xbf7ba420, v122
	v_add_f32_e32 v168, v123, v168
	v_fmamk_f32 v123, v146, 0x3e3c28d5, v170
	v_add_f32_e32 v160, v160, v169
	v_add_f32_e32 v165, v165, v171
	;; [unrolled: 1-line block ×3, first 2 shown]
	v_mul_f32_e32 v171, 0x3f2c7751, v229
	v_fma_f32 v122, 0xbf7ba420, v181, -v122
	v_fmac_f32_e32 v170, 0xbe3c28d5, v146
	v_add_f32_e32 v173, v123, v175
	v_mul_f32_e32 v123, 0x3f3d2fb0, v149
	v_fmamk_f32 v175, v181, 0x3f3d2fb0, v171
	v_add_f32_e32 v176, v122, v176
	v_add_f32_e32 v170, v170, v174
	v_mul_f32_e32 v122, 0xbf763a35, v229
	v_fmamk_f32 v174, v146, 0xbf2c7751, v123
	v_add_f32_e32 v228, v232, v230
	v_add_f32_e32 v175, v175, v177
	v_fma_f32 v171, 0x3f3d2fb0, v181, -v171
	v_fmac_f32_e32 v123, 0x3f2c7751, v146
	v_fmamk_f32 v177, v181, 0xbe8c1d8e, v122
	v_add_f32_e32 v174, v174, v131
	v_mul_f32_e32 v131, 0xbe8c1d8e, v149
	v_add_f32_e32 v171, v171, v172
	v_add_f32_e32 v172, v123, v228
	;; [unrolled: 1-line block ×3, first 2 shown]
	v_sub_f32_e32 v180, v143, v145
	v_fmamk_f32 v123, v146, 0x3f763a35, v131
	v_fma_f32 v122, 0xbe8c1d8e, v181, -v122
	v_add_f32_e32 v181, v145, v143
	v_fmac_f32_e32 v131, 0xbf763a35, v146
	v_add_f32_e32 v227, v144, v142
	v_mul_f32_e32 v143, 0xbe3c28d5, v180
	v_sub_f32_e32 v228, v142, v144
	v_mul_f32_e32 v142, 0xbf7ba420, v181
	v_add_f32_e32 v231, v131, v147
	v_mul_f32_e32 v144, 0x3eb8f4ab, v180
	v_mul_f32_e32 v147, 0xbf06c442, v180
	v_add_f32_e32 v229, v123, v158
	v_fmamk_f32 v123, v227, 0xbf7ba420, v143
	v_add_f32_e32 v230, v122, v130
	v_fmamk_f32 v130, v228, 0x3e3c28d5, v142
	v_fma_f32 v131, 0xbf7ba420, v227, -v143
	v_fmac_f32_e32 v142, 0xbe3c28d5, v228
	v_fmamk_f32 v143, v227, 0x3f6eb680, v144
	v_mul_f32_e32 v145, 0x3f6eb680, v181
	v_fma_f32 v144, 0x3f6eb680, v227, -v144
	v_fmamk_f32 v146, v227, 0xbf59a7d5, v147
	v_mul_f32_e32 v149, 0xbf59a7d5, v181
	v_add_f32_e32 v122, v123, v150
	v_add_f32_e32 v123, v130, v225
	;; [unrolled: 1-line block ×5, first 2 shown]
	v_fmamk_f32 v143, v228, 0xbeb8f4ab, v145
	v_fmac_f32_e32 v145, 0x3eb8f4ab, v228
	v_add_f32_e32 v144, v144, v153
	v_add_f32_e32 v146, v146, v157
	v_fmamk_f32 v148, v228, 0x3f06c442, v149
	v_mul_f32_e32 v151, 0x3f2c7751, v180
	v_fma_f32 v150, 0xbf59a7d5, v227, -v147
	v_fmac_f32_e32 v149, 0xbf06c442, v228
	v_mul_f32_e32 v153, 0x3f3d2fb0, v181
	v_mul_f32_e32 v157, 0xbf1a4643, v181
	v_add_f32_e32 v143, v143, v155
	v_add_f32_e32 v145, v145, v156
	;; [unrolled: 1-line block ×3, first 2 shown]
	v_fmamk_f32 v152, v227, 0x3f3d2fb0, v151
	v_add_f32_e32 v148, v150, v154
	v_add_f32_e32 v149, v149, v159
	v_fmamk_f32 v154, v228, 0xbf2c7751, v153
	v_mul_f32_e32 v155, 0xbf4c4adb, v180
	v_mul_f32_e32 v159, 0x3f65296c, v180
	v_fmamk_f32 v156, v228, 0x3f4c4adb, v157
	v_fmac_f32_e32 v157, 0xbf4c4adb, v228
	v_add_f32_e32 v150, v152, v163
	v_fma_f32 v152, 0x3f3d2fb0, v227, -v151
	v_fmac_f32_e32 v153, 0x3f2c7751, v228
	v_add_f32_e32 v151, v154, v161
	v_fmamk_f32 v154, v227, 0xbf1a4643, v155
	v_fma_f32 v158, 0xbf1a4643, v227, -v155
	v_fmamk_f32 v161, v227, 0x3ee437d1, v159
	v_mul_f32_e32 v162, 0x3ee437d1, v181
	v_add_f32_e32 v157, v157, v165
	v_mul_f32_e32 v163, 0xbf763a35, v180
	v_mul_f32_e32 v165, 0xbe8c1d8e, v181
	v_add_f32_e32 v152, v152, v164
	v_add_f32_e32 v153, v153, v166
	;; [unrolled: 1-line block ×6, first 2 shown]
	v_fmamk_f32 v160, v228, 0xbf65296c, v162
	v_fma_f32 v161, 0x3ee437d1, v227, -v159
	v_fmac_f32_e32 v162, 0x3f65296c, v228
	v_fmamk_f32 v164, v227, 0xbe8c1d8e, v163
	v_fmamk_f32 v166, v228, 0x3f763a35, v165
	v_fma_f32 v167, 0xbe8c1d8e, v227, -v163
	v_mul_f32_e32 v168, 0x3f7ee86f, v180
	v_mul_f32_e32 v169, 0x3dbcf732, v181
	v_add_f32_e32 v159, v160, v173
	v_add_f32_e32 v160, v161, v176
	;; [unrolled: 1-line block ×6, first 2 shown]
	v_fmamk_f32 v166, v227, 0x3dbcf732, v168
	v_fmamk_f32 v167, v228, 0xbf7ee86f, v169
	v_fma_f32 v168, 0x3dbcf732, v227, -v168
	v_fmac_f32_e32 v169, 0x3f7ee86f, v228
	v_fmac_f32_e32 v165, 0xbf763a35, v228
	v_add_f32_e32 v166, v166, v177
	v_add_f32_e32 v167, v167, v229
	;; [unrolled: 1-line block ×5, first 2 shown]
	s_barrier
	buffer_gl0_inv
	ds_write2_b64 v226, v[116:117], v[122:123] offset1:1
	ds_write2_b64 v226, v[142:143], v[146:147] offset0:2 offset1:3
	ds_write2_b64 v226, v[150:151], v[154:155] offset0:4 offset1:5
	;; [unrolled: 1-line block ×7, first 2 shown]
	ds_write_b64 v226, v[130:131] offset:128
	s_and_saveexec_b32 s0, vcc_lo
	s_cbranch_execz .LBB0_13
; %bb.12:
	v_add_f32_e32 v153, v222, v133
	v_sub_f32_e32 v149, v133, v222
	v_add_f32_e32 v133, v133, v119
	v_sub_f32_e32 v148, v132, v221
	v_add_f32_e32 v151, v132, v118
	v_add_f32_e32 v154, v221, v132
	;; [unrolled: 1-line block ×4, first 2 shown]
	v_sub_f32_e32 v22, v135, v3
	v_add_f32_e32 v135, v134, v151
	v_sub_f32_e32 v117, v134, v2
	v_sub_f32_e32 v122, v136, v0
	v_add_f32_e32 v132, v137, v132
	v_add_f32_e32 v133, v2, v134
	;; [unrolled: 1-line block ×8, first 2 shown]
	v_sub_f32_e32 v152, v137, v1
	v_sub_f32_e32 v137, v139, v7
	;; [unrolled: 1-line block ×3, first 2 shown]
	v_add_f32_e32 v141, v141, v136
	v_add_f32_e32 v151, v9, v125
	v_add_f32_e32 v156, v138, v135
	v_mul_f32_e32 v157, 0xbe3c28d5, v149
	buffer_store_dword v211, off, s[16:19], 0 offset:196 ; 4-byte Folded Spill
	v_add_f32_e32 v141, v129, v141
	buffer_store_dword v178, off, s[16:19], 0 offset:188 ; 4-byte Folded Spill
	buffer_store_dword v179, off, s[16:19], 0 offset:192 ; 4-byte Folded Spill
	v_add_f32_e32 v156, v140, v156
	v_fmamk_f32 v155, v154, 0xbf7ba420, v157
	v_fma_f32 v157, 0xbf7ba420, v154, -v157
	v_add_f32_e32 v159, v125, v141
	v_sub_f32_e32 v141, v125, v9
	v_add_f32_e32 v158, v128, v156
	v_mul_f32_e32 v156, 0xbf59a7d5, v153
	v_mul_f32_e32 v161, 0xbf06c442, v149
	v_add_f32_e32 v159, v127, v159
	v_sub_f32_e32 v211, v138, v6
	v_add_f32_e32 v160, v124, v158
	v_fmamk_f32 v158, v148, 0x3f06c442, v156
	v_fmac_f32_e32 v156, 0xbf06c442, v148
	v_add_f32_e32 v159, v121, v159
	v_sub_f32_e32 v123, v140, v4
	v_add_f32_e32 v160, v126, v160
	v_add_f32_e32 v145, v11, v129
	;; [unrolled: 1-line block ×6, first 2 shown]
	v_sub_f32_e32 v140, v129, v11
	v_sub_f32_e32 v129, v126, v120
	v_add_f32_e32 v9, v11, v9
	v_add_f32_e32 v125, v120, v126
	v_mul_f32_e32 v126, 0xbf1a4643, v153
	v_add_f32_e32 v160, v120, v160
	v_sub_f32_e32 v120, v127, v121
	v_add_f32_e32 v5, v5, v9
	v_fmamk_f32 v121, v154, 0xbf59a7d5, v161
	v_fma_f32 v161, 0xbf59a7d5, v154, -v161
	v_sub_f32_e32 v132, v124, v8
	v_add_f32_e32 v124, v8, v124
	v_add_f32_e32 v5, v7, v5
	v_fmamk_f32 v127, v148, 0x3f4c4adb, v126
	v_add_f32_e32 v8, v8, v160
	v_mul_f32_e32 v159, 0xbf4c4adb, v149
	v_fmac_f32_e32 v126, 0xbf4c4adb, v148
	v_add_f32_e32 v1, v1, v5
	v_sub_f32_e32 v130, v128, v10
	v_add_f32_e32 v128, v10, v128
	v_mul_f32_e32 v160, 0xbe8c1d8e, v153
	v_add_f32_e32 v8, v10, v8
	v_add_f32_e32 v178, v3, v1
	;; [unrolled: 1-line block ×3, first 2 shown]
	v_fmamk_f32 v10, v154, 0xbf1a4643, v159
	v_fma_f32 v159, 0xbf1a4643, v154, -v159
	v_mul_f32_e32 v162, 0xbf763a35, v149
	v_fmamk_f32 v11, v148, 0x3f763a35, v160
	buffer_store_dword v1, off, s[16:19], 0 offset:300 ; 4-byte Folded Spill
	v_add_f32_e32 v1, v119, v156
	v_fmac_f32_e32 v160, 0xbf763a35, v148
	v_fmamk_f32 v163, v154, 0xbe8c1d8e, v162
	v_add_f32_e32 v4, v4, v8
	v_mul_f32_e32 v8, 0x3dbcf732, v153
	buffer_store_dword v1, off, s[16:19], 0 offset:296 ; 4-byte Folded Spill
	v_add_f32_e32 v1, v118, v161
	v_fma_f32 v162, 0xbe8c1d8e, v154, -v162
	v_mul_f32_e32 v9, 0xbf7ee86f, v149
	v_add_f32_e32 v4, v6, v4
	v_fmamk_f32 v6, v148, 0x3f7ee86f, v8
	buffer_store_dword v1, off, s[16:19], 0 offset:292 ; 4-byte Folded Spill
	v_add_f32_e32 v1, v119, v126
	v_fmac_f32_e32 v8, 0xbf7ee86f, v148
	v_mul_f32_e32 v164, 0x3ee437d1, v153
	v_fmamk_f32 v7, v154, 0x3dbcf732, v9
	v_fma_f32 v9, 0x3dbcf732, v154, -v9
	buffer_store_dword v1, off, s[16:19], 0 offset:288 ; 4-byte Folded Spill
	v_add_f32_e32 v1, v118, v159
	v_fmamk_f32 v165, v148, 0x3f65296c, v164
	v_add_f32_e32 v0, v0, v4
	v_mul_f32_e32 v4, 0xbf65296c, v149
	v_fmac_f32_e32 v164, 0xbf65296c, v148
	buffer_store_dword v1, off, s[16:19], 0 offset:284 ; 4-byte Folded Spill
	v_add_f32_e32 v1, v119, v160
	v_mul_f32_e32 v5, 0x3f3d2fb0, v153
	v_add_f32_e32 v0, v2, v0
	v_fmamk_f32 v2, v154, 0x3ee437d1, v4
	v_fma_f32 v4, 0x3ee437d1, v154, -v4
	buffer_store_dword v1, off, s[16:19], 0 offset:280 ; 4-byte Folded Spill
	v_add_f32_e32 v1, v118, v162
	v_mul_f32_e32 v146, 0xbf7ba420, v153
	v_mul_f32_e32 v153, 0x3f6eb680, v153
	v_fmamk_f32 v3, v148, 0x3f2c7751, v5
	v_mul_f32_e32 v166, 0xbf2c7751, v149
	buffer_store_dword v1, off, s[16:19], 0 offset:268 ; 4-byte Folded Spill
	v_add_f32_e32 v1, v119, v8
	v_fmac_f32_e32 v5, 0xbf2c7751, v148
	v_fmamk_f32 v147, v148, 0x3e3c28d5, v146
	v_fmamk_f32 v167, v148, 0x3eb8f4ab, v153
	v_fmac_f32_e32 v146, 0xbe3c28d5, v148
	buffer_store_dword v1, off, s[16:19], 0 offset:264 ; 4-byte Folded Spill
	v_add_f32_e32 v1, v118, v9
	v_fmac_f32_e32 v153, 0xbeb8f4ab, v148
	v_fmamk_f32 v148, v154, 0x3f3d2fb0, v166
	v_fma_f32 v166, 0x3f3d2fb0, v154, -v166
	v_mul_f32_e32 v149, 0xbeb8f4ab, v149
	buffer_store_dword v1, off, s[16:19], 0 offset:260 ; 4-byte Folded Spill
	v_add_f32_e32 v1, v119, v164
	v_mul_f32_e32 v177, 0x3f6eb680, v131
	v_add_f32_e32 v147, v119, v147
	v_fmamk_f32 v168, v154, 0x3f6eb680, v149
	v_fma_f32 v149, 0x3f6eb680, v154, -v149
	buffer_store_dword v1, off, s[16:19], 0 offset:256 ; 4-byte Folded Spill
	v_add_f32_e32 v1, v118, v4
	v_add_f32_e32 v171, v118, v2
	v_mul_f32_e32 v181, 0xbf59a7d5, v18
	v_fmamk_f32 v2, v117, 0xbeb8f4ab, v177
	v_add_f32_e32 v172, v119, v3
	buffer_store_dword v1, off, s[16:19], 0 offset:252 ; 4-byte Folded Spill
	v_add_f32_e32 v1, v119, v5
	v_fmamk_f32 v3, v122, 0x3f06c442, v181
	v_add_f32_e32 v2, v2, v147
	v_add_f32_e32 v154, v118, v155
	;; [unrolled: 1-line block ×3, first 2 shown]
	buffer_store_dword v1, off, s[16:19], 0 offset:240 ; 4-byte Folded Spill
	v_add_f32_e32 v1, v118, v166
	v_mul_f32_e32 v166, 0x3eb8f4ab, v22
	v_add_f32_e32 v2, v3, v2
	v_mul_f32_e32 v7, 0x3f2c7751, v137
	v_mul_f32_e32 v225, 0xbf1a4643, v21
	buffer_store_dword v1, off, s[16:19], 0 offset:232 ; 4-byte Folded Spill
	v_add_f32_e32 v1, v119, v153
	v_mul_f32_e32 v153, 0x3f3d2fb0, v20
	v_fmamk_f32 v3, v133, 0x3f6eb680, v166
	v_mul_f32_e32 v227, 0xbf4c4adb, v139
	v_fmamk_f32 v5, v123, 0x3f4c4adb, v225
	buffer_store_dword v1, off, s[16:19], 0 offset:228 ; 4-byte Folded Spill
	v_add_f32_e32 v1, v118, v149
	v_fmamk_f32 v4, v211, 0xbf2c7751, v153
	v_add_f32_e32 v3, v3, v154
	v_mul_f32_e32 v226, 0x3ee437d1, v145
	v_mul_f32_e32 v228, 0x3f65296c, v140
	buffer_store_dword v1, off, s[16:19], 0 offset:236 ; 4-byte Folded Spill
	v_add_f32_e32 v1, v222, v178
	v_mul_f32_e32 v222, 0xbf06c442, v152
	v_add_f32_e32 v2, v4, v2
	v_add_f32_e32 v0, v221, v0
	v_mul_f32_e32 v221, 0xbe8c1d8e, v151
	v_mul_f32_e32 v229, 0xbf763a35, v141
	v_fmamk_f32 v4, v134, 0xbf59a7d5, v222
	v_add_f32_e32 v2, v5, v2
	v_fmamk_f32 v5, v130, 0xbf65296c, v226
	v_mul_f32_e32 v230, 0x3dbcf732, v138
	v_mul_f32_e32 v231, 0x3f7ee86f, v120
	v_add_f32_e32 v3, v4, v3
	v_fmamk_f32 v4, v135, 0x3f3d2fb0, v7
	v_add_f32_e32 v2, v5, v2
	v_fmamk_f32 v5, v132, 0x3f763a35, v221
	buffer_store_dword v0, off, s[16:19], 0 offset:212 ; 4-byte Folded Spill
	buffer_store_dword v1, off, s[16:19], 0 offset:216 ; 4-byte Folded Spill
	v_mul_f32_e32 v232, 0x3ee437d1, v131
	v_add_f32_e32 v3, v4, v3
	v_fmamk_f32 v4, v136, 0xbf1a4643, v227
	v_add_f32_e32 v2, v5, v2
	v_add_f32_e32 v155, v119, v158
	v_mul_f32_e32 v233, 0xbf1a4643, v20
	v_mul_f32_e32 v234, 0x3f6eb680, v21
	v_add_f32_e32 v3, v4, v3
	v_fmamk_f32 v4, v128, 0x3ee437d1, v228
	v_mul_f32_e32 v235, 0xbf7ba420, v145
	v_mul_f32_e32 v237, 0x3f65296c, v22
	v_mul_f32_e32 v238, 0x3f3d2fb0, v151
	v_add_f32_e32 v121, v118, v121
	v_add_f32_e32 v3, v4, v3
	v_fmamk_f32 v4, v124, 0xbe8c1d8e, v229
	v_add_f32_e32 v158, v119, v11
	v_fmamk_f32 v11, v132, 0xbf2c7751, v238
	v_mul_f32_e32 v239, 0xbf7ee86f, v152
	v_mul_f32_e32 v174, 0x3f4c4adb, v137
	v_add_f32_e32 v4, v4, v3
	v_fmamk_f32 v3, v129, 0xbf7ee86f, v230
	v_mul_f32_e32 v69, 0xbeb8f4ab, v139
	v_mul_f32_e32 v154, 0xbe3c28d5, v140
	;; [unrolled: 1-line block ×4, first 2 shown]
	v_add_f32_e32 v1, v3, v2
	v_fmamk_f32 v2, v125, 0x3dbcf732, v231
	v_mul_f32_e32 v245, 0xbf763a35, v120
	v_mul_f32_e32 v246, 0xbe8c1d8e, v131
	v_add_f32_e32 v127, v119, v127
	v_mul_f32_e32 v247, 0x3f6eb680, v18
	v_add_f32_e32 v0, v2, v4
	v_fmamk_f32 v4, v117, 0xbf65296c, v232
	buffer_store_dword v0, off, s[16:19], 0 offset:220 ; 4-byte Folded Spill
	buffer_store_dword v1, off, s[16:19], 0 offset:224 ; 4-byte Folded Spill
	v_add_f32_e32 v4, v4, v155
	v_mul_f32_e32 v155, 0x3dbcf732, v18
	v_add_f32_e32 v10, v118, v10
	v_add_f32_e32 v163, v118, v163
	;; [unrolled: 1-line block ×4, first 2 shown]
	v_fmamk_f32 v5, v122, 0x3f7ee86f, v155
	v_fmamk_f32 v118, v122, 0x3eb8f4ab, v247
	v_mul_f32_e32 v248, 0xbf59a7d5, v20
	v_mul_f32_e32 v249, 0x3dbcf732, v21
	v_mul_f32_e32 v250, 0x3f3d2fb0, v145
	v_add_f32_e32 v4, v5, v4
	v_fmamk_f32 v5, v211, 0xbf4c4adb, v233
	v_mul_f32_e32 v251, 0x3f763a35, v22
	v_mul_f32_e32 v252, 0xbf7ba420, v151
	;; [unrolled: 1-line block ×4, first 2 shown]
	v_add_f32_e32 v4, v5, v4
	v_fmamk_f32 v5, v123, 0x3eb8f4ab, v234
	v_mul_f32_e32 v255, 0x3f7ee86f, v139
	v_mul_f32_e32 v142, 0xbf2c7751, v140
	v_mov_b32_e32 v143, v182
	v_mov_b32_e32 v144, v183
	v_add_f32_e32 v4, v5, v4
	v_fmamk_f32 v5, v130, 0x3e3c28d5, v235
	v_mul_f32_e32 v182, 0xbe3c28d5, v141
	v_mul_f32_e32 v183, 0x3ee437d1, v138
	v_mov_b32_e32 v162, v31
	v_mov_b32_e32 v161, v30
	v_add_f32_e32 v4, v5, v4
	v_fmamk_f32 v5, v133, 0x3ee437d1, v237
	v_mov_b32_e32 v160, v29
	v_mov_b32_e32 v159, v28
	v_mov_b32_e32 v30, v186
	v_add_f32_e32 v4, v11, v4
	v_add_f32_e32 v5, v5, v121
	v_fmamk_f32 v11, v134, 0x3dbcf732, v239
	v_mov_b32_e32 v31, v187
	v_mul_f32_e32 v186, 0x3f65296c, v120
	v_mul_f32_e32 v187, 0xbf59a7d5, v131
	v_add_f32_e32 v169, v119, v6
	v_add_f32_e32 v5, v11, v5
	v_fmamk_f32 v11, v135, 0xbf1a4643, v174
	v_add_f32_e32 v165, v119, v165
	v_add_f32_e32 v167, v119, v167
	;; [unrolled: 1-line block ×3, first 2 shown]
	v_mul_f32_e32 v49, 0x3f2c7751, v152
	v_add_f32_e32 v5, v11, v5
	v_fmamk_f32 v11, v136, 0x3f6eb680, v69
	v_mul_f32_e32 v116, 0xbf65296c, v137
	v_mul_f32_e32 v40, 0xbe3c28d5, v139
	;; [unrolled: 1-line block ×3, first 2 shown]
	v_mov_b32_e32 v42, v196
	v_add_f32_e32 v5, v11, v5
	v_fmamk_f32 v11, v128, 0xbf7ba420, v154
	v_mov_b32_e32 v43, v197
	v_mul_f32_e32 v196, 0xbeb8f4ab, v141
	v_mul_f32_e32 v197, 0xbf1a4643, v138
	v_mov_b32_e32 v175, v202
	v_add_f32_e32 v5, v11, v5
	v_fmamk_f32 v11, v124, 0x3f3d2fb0, v156
	v_mov_b32_e32 v176, v203
	v_mul_f32_e32 v202, 0x3ee437d1, v21
	v_mul_f32_e32 v203, 0xbf59a7d5, v145
	;; [unrolled: 1-line block ×3, first 2 shown]
	v_add_f32_e32 v11, v11, v5
	v_fmamk_f32 v5, v129, 0x3f763a35, v244
	v_mov_b32_e32 v50, v206
	v_mov_b32_e32 v51, v207
	v_mul_f32_e32 v206, 0x3eb8f4ab, v137
	v_mul_f32_e32 v207, 0xbf65296c, v139
	v_add_f32_e32 v1, v5, v4
	v_fmamk_f32 v4, v125, 0xbe8c1d8e, v245
	v_mov_b32_e32 v243, v55
	v_mov_b32_e32 v242, v54
	;; [unrolled: 1-line block ×4, first 2 shown]
	v_add_f32_e32 v0, v4, v11
	v_fmamk_f32 v11, v117, 0xbf763a35, v246
	buffer_store_dword v0, off, s[16:19], 0 offset:244 ; 4-byte Folded Spill
	buffer_store_dword v1, off, s[16:19], 0 offset:248 ; 4-byte Folded Spill
	v_add_f32_e32 v11, v11, v127
	buffer_store_dword v77, off, s[16:19], 0 offset:200 ; 4-byte Folded Spill
	v_mov_b32_e32 v78, v47
	v_mov_b32_e32 v77, v46
	;; [unrolled: 1-line block ×3, first 2 shown]
	v_add_f32_e32 v11, v118, v11
	v_fmamk_f32 v118, v211, 0x3f06c442, v248
	v_mov_b32_e32 v75, v44
	v_mul_f32_e32 v44, 0xbf4c4adb, v120
	v_mov_b32_e32 v45, v200
	v_mov_b32_e32 v46, v201
	v_add_f32_e32 v11, v118, v11
	v_fmamk_f32 v118, v123, 0xbf7ee86f, v249
	v_mul_f32_e32 v200, 0xbf7ba420, v131
	v_mul_f32_e32 v201, 0x3f6eb680, v20
	;; [unrolled: 1-line block ×4, first 2 shown]
	v_add_f32_e32 v11, v118, v11
	v_fmamk_f32 v118, v130, 0x3f2c7751, v250
	v_mul_f32_e32 v68, 0x3f2c7751, v120
	v_mov_b32_e32 v54, v212
	v_mov_b32_e32 v55, v213
	v_mul_f32_e32 v212, 0xbf1a4643, v131
	v_add_f32_e32 v11, v118, v11
	v_fmamk_f32 v118, v133, 0xbe8c1d8e, v251
	v_mul_f32_e32 v213, 0xbe8c1d8e, v20
	v_mov_b32_e32 v70, v214
	v_mov_b32_e32 v71, v215
	v_mul_f32_e32 v214, 0x3f3d2fb0, v21
	v_add_f32_e32 v10, v118, v10
	v_fmamk_f32 v118, v132, 0x3e3c28d5, v252
	v_mul_f32_e32 v215, 0x3f6eb680, v145
	v_mul_f32_e32 v150, 0xbf4c4adb, v22
	v_mov_b32_e32 v47, v72
	v_mul_f32_e32 v72, 0x3e3c28d5, v152
	v_add_f32_e32 v11, v118, v11
	v_fmamk_f32 v118, v134, 0x3f6eb680, v253
	v_mov_b32_e32 v180, v73
	v_mov_b32_e32 v173, v74
	;; [unrolled: 1-line block ×4, first 2 shown]
	v_add_f32_e32 v10, v118, v10
	v_fmamk_f32 v118, v135, 0xbf59a7d5, v254
	v_mul_f32_e32 v218, 0x3f763a35, v137
	v_mul_f32_e32 v219, 0x3f2c7751, v139
	v_mov_b32_e32 v164, v236
	v_mul_f32_e32 v236, 0xbf7ee86f, v141
	v_add_f32_e32 v10, v118, v10
	v_fmamk_f32 v118, v136, 0x3dbcf732, v255
	v_mul_f32_e32 v178, 0xbf59a7d5, v138
	v_mul_f32_e32 v179, 0xbf06c442, v120
	v_mov_b32_e32 v157, v79
	v_mov_b32_e32 v79, v224
	v_add_f32_e32 v10, v118, v10
	v_fmamk_f32 v118, v128, 0x3f3d2fb0, v142
	v_mul_f32_e32 v224, 0x3dbcf732, v131
	v_mov_b32_e32 v28, v184
	v_mov_b32_e32 v29, v185
	v_mul_f32_e32 v184, 0xbf7ba420, v20
	v_add_f32_e32 v10, v118, v10
	v_fmamk_f32 v118, v124, 0xbf7ba420, v182
	v_mul_f32_e32 v185, 0xbf59a7d5, v21
	v_mul_f32_e32 v14, 0xbf4c4adb, v152
	;; [unrolled: 1-line block ×4, first 2 shown]
	v_add_f32_e32 v10, v118, v10
	v_fmamk_f32 v118, v129, 0xbf65296c, v183
	v_fmamk_f32 v15, v134, 0xbf1a4643, v14
	v_fmamk_f32 v3, v135, 0xbf7ba420, v2
	v_fmamk_f32 v13, v132, 0xbf65296c, v12
	v_mul_f32_e32 v4, 0x3f763a35, v140
	v_add_f32_e32 v1, v118, v11
	v_fmamk_f32 v118, v125, 0x3ee437d1, v186
	v_mul_f32_e32 v16, 0x3f6eb680, v138
	v_mul_f32_e32 v24, 0xbf4c4adb, v140
	v_fmamk_f32 v5, v128, 0xbe8c1d8e, v4
	v_mul_f32_e32 v27, 0xbe3c28d5, v120
	v_add_f32_e32 v0, v118, v10
	v_fmamk_f32 v118, v117, 0xbf06c442, v187
	v_mov_b32_e32 v8, v32
	v_mov_b32_e32 v9, v33
	;; [unrolled: 1-line block ×4, first 2 shown]
	v_add_f32_e32 v118, v118, v158
	v_mul_f32_e32 v158, 0x3f3d2fb0, v18
	v_mov_b32_e32 v32, v188
	v_mov_b32_e32 v33, v189
	v_mul_f32_e32 v188, 0x3ee437d1, v20
	v_mul_f32_e32 v189, 0xbf7ba420, v21
	v_fmamk_f32 v119, v122, 0xbf2c7751, v158
	v_mov_b32_e32 v34, v190
	v_mov_b32_e32 v35, v191
	v_mul_f32_e32 v190, 0x3dbcf732, v145
	v_mul_f32_e32 v191, 0x3f06c442, v22
	v_add_f32_e32 v118, v119, v118
	v_fmamk_f32 v119, v211, 0x3f65296c, v188
	buffer_store_dword v0, off, s[16:19], 0 offset:272 ; 4-byte Folded Spill
	buffer_store_dword v1, off, s[16:19], 0 offset:276 ; 4-byte Folded Spill
	;; [unrolled: 1-line block ×3, first 2 shown]
	v_mul_f32_e32 v205, 0xbe3c28d5, v22
	buffer_store_dword v210, off, s[16:19], 0 offset:204 ; 4-byte Folded Spill
	v_add_f32_e32 v118, v119, v118
	v_fmamk_f32 v119, v123, 0x3e3c28d5, v189
	v_mul_f32_e32 v210, 0x3f3d2fb0, v138
	buffer_store_dword v220, off, s[16:19], 0 offset:304 ; 4-byte Folded Spill
	v_mul_f32_e32 v220, 0xbeb8f4ab, v140
	v_mul_f32_e32 v0, 0xbe8c1d8e, v145
	v_add_f32_e32 v118, v119, v118
	v_fmamk_f32 v119, v130, 0xbf7ee86f, v190
	v_mul_f32_e32 v1, 0xbf7ee86f, v22
	v_fmamk_f32 v17, v129, 0xbeb8f4ab, v16
	v_mul_f32_e32 v145, 0xbf1a4643, v145
	v_fmamk_f32 v25, v128, 0xbf1a4643, v24
	v_add_f32_e32 v118, v119, v118
	v_fmamk_f32 v119, v133, 0xbf59a7d5, v191
	v_fmac_f32_e32 v177, 0x3eb8f4ab, v117
	v_fmac_f32_e32 v181, 0xbf06c442, v122
	;; [unrolled: 1-line block ×4, first 2 shown]
	v_add_f32_e32 v119, v119, v163
	v_mul_f32_e32 v163, 0x3f6eb680, v151
	v_fmac_f32_e32 v226, 0x3f65296c, v130
	v_fmac_f32_e32 v221, 0xbf763a35, v132
	;; [unrolled: 1-line block ×4, first 2 shown]
	v_fmamk_f32 v121, v132, 0x3eb8f4ab, v163
	v_fmac_f32_e32 v155, 0xbf7ee86f, v122
	v_fmac_f32_e32 v233, 0x3f4c4adb, v211
	v_fmac_f32_e32 v234, 0xbeb8f4ab, v123
	v_fmac_f32_e32 v235, 0xbe3c28d5, v130
	v_add_f32_e32 v118, v121, v118
	v_fmamk_f32 v121, v134, 0x3f3d2fb0, v49
	v_fmac_f32_e32 v238, 0x3f2c7751, v132
	v_fmac_f32_e32 v244, 0xbf763a35, v129
	v_fmac_f32_e32 v246, 0x3f763a35, v117
	v_fmac_f32_e32 v247, 0xbeb8f4ab, v122
	v_add_f32_e32 v119, v121, v119
	v_fmamk_f32 v121, v135, 0x3ee437d1, v116
	v_fmac_f32_e32 v248, 0xbf06c442, v211
	v_fmac_f32_e32 v249, 0x3f7ee86f, v123
	v_fmac_f32_e32 v250, 0xbf2c7751, v130
	v_fmac_f32_e32 v252, 0xbe3c28d5, v132
	v_add_f32_e32 v119, v121, v119
	v_fmamk_f32 v121, v136, 0xbf7ba420, v40
	v_fmac_f32_e32 v183, 0x3f65296c, v129
	v_fmac_f32_e32 v187, 0x3f06c442, v117
	v_fmac_f32_e32 v158, 0x3f2c7751, v122
	v_fmac_f32_e32 v188, 0xbf65296c, v211
	v_add_f32_e32 v119, v121, v119
	v_fmamk_f32 v121, v128, 0x3dbcf732, v41
	v_fmac_f32_e32 v189, 0xbe3c28d5, v123
	v_fmac_f32_e32 v190, 0x3f7ee86f, v130
	;; [unrolled: 1-line block ×3, first 2 shown]
	v_fma_f32 v2, 0xbf7ba420, v135, -v2
	v_add_f32_e32 v119, v121, v119
	v_fmamk_f32 v121, v124, 0x3f6eb680, v196
	v_fmac_f32_e32 v12, 0x3f65296c, v132
	v_fmac_f32_e32 v16, 0x3eb8f4ab, v129
	v_add_f32_e32 v121, v121, v119
	v_fmamk_f32 v119, v129, 0x3f4c4adb, v197
	v_fmac_f32_e32 v197, 0xbf4c4adb, v129
	v_add_f32_e32 v119, v119, v118
	v_fmamk_f32 v118, v125, 0xbf1a4643, v44
	v_add_f32_e32 v118, v118, v121
	v_fmamk_f32 v121, v117, 0x3e3c28d5, v200
	v_fmac_f32_e32 v200, 0xbe3c28d5, v117
	v_add_f32_e32 v121, v121, v169
	v_mul_f32_e32 v169, 0xbe8c1d8e, v18
	v_fmamk_f32 v126, v122, 0xbf763a35, v169
	v_fmac_f32_e32 v169, 0x3f763a35, v122
	v_add_f32_e32 v121, v126, v121
	v_fmamk_f32 v126, v211, 0xbeb8f4ab, v201
	v_fmac_f32_e32 v201, 0x3eb8f4ab, v211
	v_add_f32_e32 v121, v126, v121
	;; [unrolled: 3-line block ×4, first 2 shown]
	v_fmamk_f32 v126, v133, 0xbf7ba420, v205
	v_add_f32_e32 v126, v126, v170
	v_mul_f32_e32 v170, 0xbf1a4643, v151
	v_fmamk_f32 v127, v132, 0xbf4c4adb, v170
	v_fmac_f32_e32 v170, 0x3f4c4adb, v132
	v_add_f32_e32 v121, v127, v121
	v_fmamk_f32 v127, v134, 0xbe8c1d8e, v48
	v_add_f32_e32 v126, v127, v126
	v_fmamk_f32 v127, v135, 0x3f6eb680, v206
	;; [unrolled: 2-line block ×6, first 2 shown]
	v_fmac_f32_e32 v210, 0x3f2c7751, v129
	v_add_f32_e32 v127, v127, v121
	v_fmamk_f32 v121, v125, 0x3f3d2fb0, v68
	v_add_f32_e32 v126, v121, v126
	v_fmamk_f32 v121, v117, 0x3f4c4adb, v212
	v_fmac_f32_e32 v212, 0xbf4c4adb, v117
	v_add_f32_e32 v121, v121, v165
	v_mul_f32_e32 v165, 0xbf7ba420, v18
	v_fmamk_f32 v146, v122, 0xbe3c28d5, v165
	v_fmac_f32_e32 v165, 0x3e3c28d5, v122
	v_add_f32_e32 v121, v146, v121
	v_fmamk_f32 v146, v211, 0xbf763a35, v213
	v_fmac_f32_e32 v213, 0x3f763a35, v211
	v_add_f32_e32 v121, v146, v121
	;; [unrolled: 3-line block ×4, first 2 shown]
	v_fmamk_f32 v146, v133, 0xbf1a4643, v150
	v_add_f32_e32 v146, v146, v171
	v_mul_f32_e32 v171, 0x3dbcf732, v151
	v_fmamk_f32 v147, v132, 0x3f7ee86f, v171
	v_fmac_f32_e32 v171, 0xbf7ee86f, v132
	v_add_f32_e32 v121, v147, v121
	v_fmamk_f32 v147, v134, 0xbf7ba420, v72
	v_add_f32_e32 v146, v147, v146
	v_fmamk_f32 v147, v135, 0xbe8c1d8e, v218
	;; [unrolled: 2-line block ×6, first 2 shown]
	v_fmac_f32_e32 v178, 0xbf06c442, v129
	v_add_f32_e32 v147, v147, v121
	v_fmamk_f32 v121, v125, 0xbf59a7d5, v179
	v_add_f32_e32 v146, v121, v146
	v_fmamk_f32 v121, v117, 0x3f7ee86f, v224
	v_fmac_f32_e32 v224, 0xbf7ee86f, v117
	v_add_f32_e32 v121, v121, v172
	v_mul_f32_e32 v172, 0xbf1a4643, v18
	v_mul_f32_e32 v18, 0x3ee437d1, v18
	v_fmamk_f32 v149, v122, 0x3f4c4adb, v172
	v_fmamk_f32 v19, v122, 0x3f65296c, v18
	v_fmac_f32_e32 v172, 0xbf4c4adb, v122
	v_fmac_f32_e32 v18, 0xbf65296c, v122
	v_add_f32_e32 v121, v149, v121
	v_fmamk_f32 v149, v211, 0x3e3c28d5, v184
	v_fmac_f32_e32 v184, 0xbe3c28d5, v211
	v_add_f32_e32 v121, v149, v121
	v_fmamk_f32 v149, v123, 0xbf06c442, v185
	;; [unrolled: 3-line block ×4, first 2 shown]
	v_fma_f32 v1, 0x3dbcf732, v133, -v1
	v_add_f32_e32 v13, v13, v121
	v_add_f32_e32 v148, v149, v148
	v_add_f32_e32 v149, v17, v13
	v_add_f32_e32 v15, v15, v148
	v_mul_f32_e32 v13, 0x3eb8f4ab, v120
	v_add_f32_e32 v3, v3, v15
	v_mul_f32_e32 v15, 0x3f06c442, v139
	v_fmamk_f32 v17, v125, 0x3f6eb680, v13
	v_fmamk_f32 v121, v136, 0xbf59a7d5, v15
	v_add_f32_e32 v3, v121, v3
	v_add_f32_e32 v3, v5, v3
	v_mul_f32_e32 v5, 0x3f65296c, v141
	v_fmamk_f32 v121, v124, 0x3ee437d1, v5
	v_add_f32_e32 v3, v121, v3
	v_add_f32_e32 v148, v17, v3
	v_mul_f32_e32 v3, 0x3f3d2fb0, v131
	v_mul_f32_e32 v131, 0xbe8c1d8e, v21
	v_fmamk_f32 v17, v117, 0x3f2c7751, v3
	v_fmac_f32_e32 v3, 0xbf2c7751, v117
	v_add_f32_e32 v17, v17, v167
	v_mul_f32_e32 v167, 0xbf59a7d5, v151
	v_add_f32_e32 v17, v19, v17
	v_mul_f32_e32 v19, 0x3dbcf732, v20
	v_mul_f32_e32 v20, 0xbf2c7751, v22
	;; [unrolled: 1-line block ×3, first 2 shown]
	v_fmamk_f32 v121, v211, 0x3f7ee86f, v19
	v_fmamk_f32 v21, v133, 0x3f3d2fb0, v20
	;; [unrolled: 1-line block ×3, first 2 shown]
	v_fmac_f32_e32 v19, 0xbf7ee86f, v211
	v_add_f32_e32 v17, v121, v17
	v_fmamk_f32 v121, v123, 0x3f763a35, v131
	v_add_f32_e32 v21, v21, v168
	v_mul_f32_e32 v168, 0xbf763a35, v139
	v_fmac_f32_e32 v131, 0xbf763a35, v123
	v_add_f32_e32 v17, v121, v17
	v_fmamk_f32 v121, v130, 0x3f4c4adb, v145
	v_add_f32_e32 v21, v23, v21
	v_mul_f32_e32 v23, 0xbf7ee86f, v137
	v_fmac_f32_e32 v145, 0xbf4c4adb, v130
	v_add_f32_e32 v17, v121, v17
	v_fmamk_f32 v121, v132, 0x3f06c442, v167
	v_fmac_f32_e32 v167, 0xbf06c442, v132
	v_add_f32_e32 v17, v121, v17
	v_fmamk_f32 v121, v135, 0x3dbcf732, v23
	v_add_f32_e32 v21, v121, v21
	v_fmamk_f32 v121, v136, 0xbe8c1d8e, v168
	v_add_f32_e32 v21, v121, v21
	v_add_f32_e32 v21, v25, v21
	v_mul_f32_e32 v25, 0xbf06c442, v141
	v_fmamk_f32 v26, v124, 0xbf59a7d5, v25
	v_add_f32_e32 v21, v26, v21
	v_mul_f32_e32 v26, 0xbf7ba420, v138
	v_fmamk_f32 v120, v129, 0x3e3c28d5, v26
	v_fmac_f32_e32 v26, 0xbe3c28d5, v129
	v_add_f32_e32 v121, v120, v17
	v_fmamk_f32 v17, v125, 0xbf7ba420, v27
	v_add_f32_e32 v120, v17, v21
	v_add_f32_e32 v17, v177, v6
	buffer_load_dword v6, off, s[16:19], 0 offset:300 ; 4-byte Folded Reload
	v_fma_f32 v21, 0x3f6eb680, v133, -v166
	v_add_f32_e32 v17, v181, v17
	v_add_f32_e32 v17, v153, v17
	v_add_f32_e32 v17, v225, v17
	v_add_f32_e32 v17, v226, v17
	v_add_f32_e32 v17, v221, v17
	v_add_f32_e32 v138, v230, v17
	buffer_load_dword v17, off, s[16:19], 0 offset:292 ; 4-byte Folded Reload
	s_waitcnt vmcnt(1)
	v_add_f32_e32 v6, v21, v6
	v_fma_f32 v21, 0xbf59a7d5, v134, -v222
	v_add_f32_e32 v6, v21, v6
	v_fma_f32 v21, 0x3f3d2fb0, v135, -v7
	v_fma_f32 v7, 0x3ee437d1, v133, -v237
	v_add_f32_e32 v6, v21, v6
	v_fma_f32 v21, 0xbf1a4643, v136, -v227
	v_add_f32_e32 v6, v21, v6
	;; [unrolled: 2-line block ×5, first 2 shown]
	buffer_load_dword v6, off, s[16:19], 0 offset:296 ; 4-byte Folded Reload
	v_fma_f32 v21, 0xbf59a7d5, v125, -v179
	s_waitcnt vmcnt(0)
	v_add_f32_e32 v6, v232, v6
	v_add_f32_e32 v6, v155, v6
	;; [unrolled: 1-line block ×7, first 2 shown]
	buffer_load_dword v6, off, s[16:19], 0 offset:288 ; 4-byte Folded Reload
	v_add_f32_e32 v7, v7, v17
	v_fma_f32 v17, 0x3dbcf732, v134, -v239
	v_add_f32_e32 v7, v17, v7
	v_fma_f32 v17, 0xbf1a4643, v135, -v174
	;; [unrolled: 2-line block ×6, first 2 shown]
	v_add_f32_e32 v139, v17, v7
	buffer_load_dword v17, off, s[16:19], 0 offset:284 ; 4-byte Folded Reload
	v_fma_f32 v7, 0xbe8c1d8e, v133, -v251
	s_waitcnt vmcnt(1)
	v_add_f32_e32 v6, v246, v6
	v_add_f32_e32 v6, v247, v6
	v_add_f32_e32 v6, v248, v6
	v_add_f32_e32 v6, v249, v6
	v_add_f32_e32 v6, v250, v6
	v_add_f32_e32 v6, v252, v6
	s_waitcnt vmcnt(0)
	v_add_f32_e32 v7, v7, v17
	v_fma_f32 v17, 0x3f6eb680, v134, -v253
	v_add_f32_e32 v7, v17, v7
	v_fma_f32 v17, 0xbf59a7d5, v135, -v254
	v_add_f32_e32 v7, v17, v7
	v_fma_f32 v17, 0x3dbcf732, v136, -v255
	v_add_f32_e32 v7, v17, v7
	v_fma_f32 v17, 0x3f3d2fb0, v128, -v142
	v_add_f32_e32 v142, v183, v6
	buffer_load_dword v6, off, s[16:19], 0 offset:280 ; 4-byte Folded Reload
	v_add_f32_e32 v7, v17, v7
	v_fma_f32 v17, 0xbf7ba420, v124, -v182
	v_mov_b32_e32 v183, v144
	v_mov_b32_e32 v182, v143
	v_add_f32_e32 v7, v17, v7
	v_fma_f32 v17, 0x3ee437d1, v125, -v186
	v_add_f32_e32 v141, v17, v7
	v_fma_f32 v7, 0xbf59a7d5, v133, -v191
	v_fma_f32 v17, 0x3f3d2fb0, v134, -v49
	s_waitcnt vmcnt(0)
	v_add_f32_e32 v6, v187, v6
	v_mov_b32_e32 v187, v31
	v_mov_b32_e32 v186, v30
	v_add_f32_e32 v6, v158, v6
	v_add_f32_e32 v6, v188, v6
	;; [unrolled: 1-line block ×3, first 2 shown]
	v_mov_b32_e32 v189, v33
	v_mov_b32_e32 v188, v32
	v_add_f32_e32 v6, v190, v6
	v_mov_b32_e32 v191, v35
	v_mov_b32_e32 v190, v34
	;; [unrolled: 1-line block ×6, first 2 shown]
	buffer_load_dword v8, off, s[16:19], 0 offset:268 ; 4-byte Folded Reload
	v_add_f32_e32 v6, v163, v6
	v_fma_f32 v9, 0xbf1a4643, v133, -v150
	v_add_f32_e32 v144, v197, v6
	buffer_load_dword v6, off, s[16:19], 0 offset:264 ; 4-byte Folded Reload
	s_waitcnt vmcnt(1)
	v_add_f32_e32 v7, v7, v8
	v_add_f32_e32 v7, v17, v7
	v_fma_f32 v17, 0x3ee437d1, v135, -v116
	s_waitcnt vmcnt(0)
	v_add_f32_e32 v6, v200, v6
	v_add_f32_e32 v7, v17, v7
	v_fma_f32 v17, 0xbf7ba420, v136, -v40
	v_add_f32_e32 v6, v169, v6
	v_add_f32_e32 v7, v17, v7
	v_fma_f32 v17, 0x3dbcf732, v128, -v41
	v_add_f32_e32 v6, v201, v6
	v_mov_b32_e32 v201, v46
	v_mov_b32_e32 v200, v45
	v_add_f32_e32 v7, v17, v7
	v_fma_f32 v17, 0x3f6eb680, v124, -v196
	v_add_f32_e32 v6, v202, v6
	v_mov_b32_e32 v197, v43
	v_mov_b32_e32 v196, v42
	;; [unrolled: 5-line block ×3, first 2 shown]
	v_add_f32_e32 v143, v17, v7
	v_fma_f32 v7, 0xbf7ba420, v133, -v205
	s_clause 0x2
	buffer_load_dword v205, off, s[16:19], 0 offset:208
	buffer_load_dword v8, off, s[16:19], 0 offset:260
	;; [unrolled: 1-line block ×3, first 2 shown]
	v_fma_f32 v17, 0xbf7ba420, v134, -v72
	v_add_f32_e32 v6, v170, v6
	v_mov_b32_e32 v72, v47
	v_mov_b32_e32 v44, v75
	;; [unrolled: 1-line block ×5, first 2 shown]
	buffer_load_dword v77, off, s[16:19], 0 offset:200 ; 4-byte Folded Reload
	v_add_f32_e32 v151, v210, v6
	buffer_load_dword v210, off, s[16:19], 0 offset:204 ; 4-byte Folded Reload
	v_fma_f32 v6, 0x3f3d2fb0, v133, -v20
	s_waitcnt vmcnt(3)
	v_add_f32_e32 v7, v7, v8
	v_fma_f32 v8, 0xbe8c1d8e, v134, -v48
	s_waitcnt vmcnt(2)
	v_add_f32_e32 v9, v9, v10
	buffer_load_dword v10, off, s[16:19], 0 offset:240 ; 4-byte Folded Reload
	v_add_f32_e32 v7, v8, v7
	v_fma_f32 v8, 0x3f6eb680, v135, -v206
	v_add_f32_e32 v9, v17, v9
	v_fma_f32 v17, 0xbe8c1d8e, v135, -v218
	;; [unrolled: 2-line block ×4, first 2 shown]
	v_mov_b32_e32 v207, v51
	v_mov_b32_e32 v219, v74
	v_add_f32_e32 v7, v8, v7
	v_fma_f32 v8, 0xbf59a7d5, v128, -v52
	v_add_f32_e32 v9, v17, v9
	v_fma_f32 v17, 0x3f6eb680, v128, -v220
	v_mov_b32_e32 v206, v50
	v_mov_b32_e32 v218, v73
	v_add_f32_e32 v7, v8, v7
	v_fma_f32 v8, 0xbf1a4643, v124, -v53
	v_add_f32_e32 v9, v17, v9
	v_fma_f32 v17, 0x3dbcf732, v124, -v236
	v_mov_b32_e32 v74, v173
	v_mov_b32_e32 v73, v180
	v_add_f32_e32 v7, v8, v7
	buffer_load_dword v8, off, s[16:19], 0 offset:256 ; 4-byte Folded Reload
	v_add_f32_e32 v9, v17, v9
	v_mov_b32_e32 v236, v164
	v_add_f32_e32 v152, v21, v9
	s_waitcnt vmcnt(1)
	v_add_f32_e32 v17, v224, v10
	v_mov_b32_e32 v224, v79
	v_mov_b32_e32 v79, v157
	v_add_f32_e32 v17, v172, v17
	v_add_f32_e32 v17, v184, v17
	;; [unrolled: 1-line block ×3, first 2 shown]
	v_mov_b32_e32 v185, v29
	v_mov_b32_e32 v184, v28
	;; [unrolled: 1-line block ×4, first 2 shown]
	v_add_f32_e32 v0, v0, v17
	v_fma_f32 v17, 0x3f3d2fb0, v125, -v68
	v_mov_b32_e32 v30, v161
	v_mov_b32_e32 v31, v162
	v_add_f32_e32 v0, v12, v0
	v_add_f32_e32 v150, v17, v7
	s_waitcnt vmcnt(0)
	v_add_f32_e32 v8, v212, v8
	v_add_f32_e32 v8, v165, v8
	;; [unrolled: 1-line block ×3, first 2 shown]
	v_mov_b32_e32 v213, v55
	v_mov_b32_e32 v212, v54
	;; [unrolled: 1-line block ×4, first 2 shown]
	v_add_f32_e32 v8, v214, v8
	v_mov_b32_e32 v54, v242
	v_mov_b32_e32 v55, v243
	v_add_f32_e32 v8, v215, v8
	v_mov_b32_e32 v215, v71
	v_mov_b32_e32 v214, v70
	v_add_f32_e32 v8, v171, v8
	v_add_f32_e32 v153, v178, v8
	s_clause 0x4
	buffer_load_dword v178, off, s[16:19], 0 offset:188
	buffer_load_dword v179, off, s[16:19], 0 offset:192
	;; [unrolled: 1-line block ×5, first 2 shown]
	s_waitcnt vmcnt(2)
	v_add_f32_e32 v1, v1, v7
	s_waitcnt vmcnt(1)
	v_add_f32_e32 v3, v3, v8
	buffer_load_dword v8, off, s[16:19], 0 offset:236 ; 4-byte Folded Reload
	v_fma_f32 v7, 0xbf1a4643, v134, -v14
	v_add_f32_e32 v3, v18, v3
	v_add_f32_e32 v1, v7, v1
	v_fma_f32 v7, 0x3dbcf732, v135, -v23
	v_add_f32_e32 v3, v19, v3
	v_add_f32_e32 v1, v2, v1
	;; [unrolled: 3-line block ×4, first 2 shown]
	v_fma_f32 v2, 0x3ee437d1, v124, -v5
	v_add_f32_e32 v3, v167, v3
	v_fma_f32 v5, 0xbf59a7d5, v124, -v25
	v_add_f32_e32 v1, v2, v1
	;; [unrolled: 2-line block ×3, first 2 shown]
	s_waitcnt vmcnt(0)
	v_add_f32_e32 v6, v6, v8
	v_fma_f32 v8, 0x3ee437d1, v134, -v22
	v_add_f32_e32 v6, v8, v6
	v_add_f32_e32 v6, v7, v6
	v_fma_f32 v7, 0xbe8c1d8e, v136, -v168
	v_add_f32_e32 v4, v7, v6
	v_fma_f32 v6, 0xbf1a4643, v128, -v24
	v_add_f32_e32 v7, v16, v0
	v_add_f32_e32 v4, v6, v4
	buffer_load_dword v6, off, s[16:19], 0 offset:304 ; 4-byte Folded Reload
	v_add_f32_e32 v4, v5, v4
	v_fma_f32 v5, 0xbf7ba420, v125, -v27
	v_add_f32_e32 v8, v5, v4
	s_waitcnt vmcnt(0)
	v_lshlrev_b32_e32 v12, 3, v6
	v_add_f32_e32 v6, v2, v1
	s_clause 0x1
	buffer_load_dword v0, off, s[16:19], 0 offset:212
	buffer_load_dword v1, off, s[16:19], 0 offset:216
	s_waitcnt vmcnt(0)
	ds_write2_b64 v12, v[0:1], v[120:121] offset1:1
	ds_write2_b64 v12, v[148:149], v[146:147] offset0:2 offset1:3
	ds_write2_b64 v12, v[126:127], v[118:119] offset0:4 offset1:5
	s_clause 0x3
	buffer_load_dword v0, off, s[16:19], 0 offset:244
	buffer_load_dword v1, off, s[16:19], 0 offset:248
	buffer_load_dword v2, off, s[16:19], 0 offset:272
	buffer_load_dword v3, off, s[16:19], 0 offset:276
	s_waitcnt vmcnt(0)
	ds_write2_b64 v12, v[2:3], v[0:1] offset0:6 offset1:7
	s_clause 0x1
	buffer_load_dword v0, off, s[16:19], 0 offset:220
	buffer_load_dword v1, off, s[16:19], 0 offset:224
	s_waitcnt vmcnt(0)
	ds_write2_b64 v12, v[0:1], v[137:138] offset0:8 offset1:9
	ds_write2_b64 v12, v[139:140], v[141:142] offset0:10 offset1:11
	;; [unrolled: 1-line block ×4, first 2 shown]
	ds_write_b64 v12, v[8:9] offset:128
.LBB0_13:
	s_or_b32 exec_lo, exec_lo, s0
	v_add_nc_u32_e32 v116, 0x800, v223
	v_add_nc_u32_e32 v10, 0x1800, v223
	;; [unrolled: 1-line block ×3, first 2 shown]
	s_waitcnt lgkmcnt(0)
	s_waitcnt_vscnt null, 0x0
	s_barrier
	buffer_gl0_inv
	ds_read2_b64 v[0:3], v116 offset0:152 offset1:203
	ds_read2_b64 v[4:7], v10 offset0:150 offset1:201
	;; [unrolled: 1-line block ×3, first 2 shown]
	ds_read2_b64 v[122:125], v223 offset1:51
	ds_read2_b64 v[126:129], v223 offset0:102 offset1:153
	v_add_nc_u32_e32 v9, 0x1c00, v223
	v_add_nc_u32_e32 v11, 0x1000, v223
	;; [unrolled: 1-line block ×3, first 2 shown]
	ds_read2_b64 v[130:133], v223 offset0:204 offset1:255
	ds_read_b64 v[162:163], v223 offset:10608
	ds_read2_b64 v[134:137], v9 offset0:124 offset1:175
	ds_read2_b64 v[138:141], v11 offset0:100 offset1:151
	;; [unrolled: 1-line block ×7, first 2 shown]
	s_mov_b32 s4, 0xdee863a6
	s_mov_b32 s5, 0x3f47cbf1
	s_mul_hi_u32 s1, s8, 0x51
	s_waitcnt lgkmcnt(13)
	v_mul_f32_e32 v12, v33, v3
	v_mul_f32_e32 v13, v33, v2
	s_waitcnt lgkmcnt(12)
	v_mul_f32_e32 v14, v35, v5
	v_mul_f32_e32 v15, v35, v4
	s_waitcnt lgkmcnt(11)
	v_mul_f32_e32 v19, v53, v121
	v_fmac_f32_e32 v12, v32, v2
	v_fma_f32 v3, v32, v3, -v13
	v_fmac_f32_e32 v14, v34, v4
	v_mul_f32_e32 v2, v29, v118
	v_fma_f32 v5, v34, v5, -v15
	s_clause 0x7
	buffer_load_dword v32, off, s[16:19], 0 offset:108
	buffer_load_dword v33, off, s[16:19], 0 offset:112
	;; [unrolled: 1-line block ×8, first 2 shown]
	v_fmac_f32_e32 v19, v52, v120
	v_fma_f32 v15, v28, v119, -v2
	v_mul_f32_e32 v2, v53, v120
	v_mul_f32_e32 v4, v31, v6
	;; [unrolled: 1-line block ×4, first 2 shown]
	s_waitcnt lgkmcnt(5)
	v_mul_f32_e32 v23, v45, v139
	v_fma_f32 v21, v52, v121, -v2
	s_clause 0x3
	buffer_load_dword v50, off, s[16:19], 0 offset:64
	buffer_load_dword v51, off, s[16:19], 0 offset:68
	buffer_load_dword v52, off, s[16:19], 0 offset:72
	buffer_load_dword v53, off, s[16:19], 0 offset:76
	v_fma_f32 v17, v30, v7, -v4
	v_mul_f32_e32 v4, v55, v134
	v_mul_f32_e32 v2, v45, v138
	v_fmac_f32_e32 v13, v30, v6
	v_fmac_f32_e32 v23, v44, v138
	;; [unrolled: 1-line block ×3, first 2 shown]
	v_fma_f32 v22, v54, v135, -v4
	v_mul_f32_e32 v4, v47, v136
	v_fma_f32 v25, v44, v139, -v2
	v_mul_f32_e32 v20, v55, v135
	v_add_f32_e32 v6, v122, v12
	v_add_f32_e32 v7, v3, v5
	v_fma_f32 v26, v46, v137, -v4
	v_sub_f32_e32 v18, v3, v5
	v_add_f32_e32 v28, v123, v3
	v_fmac_f32_e32 v20, v54, v134
	v_mul_f32_e32 v24, v47, v137
	v_fma_f32 v3, -0.5, v7, v123
	v_add_f32_e32 v5, v28, v5
	v_add_f32_e32 v28, v15, v17
	v_fmac_f32_e32 v24, v46, v136
	s_waitcnt vmcnt(10)
	v_mul_f32_e32 v2, v33, v140
	s_waitcnt vmcnt(8) lgkmcnt(4)
	v_mul_f32_e32 v30, v35, v143
	v_mul_f32_e32 v4, v35, v142
	;; [unrolled: 1-line block ×3, first 2 shown]
	s_waitcnt vmcnt(6) lgkmcnt(3)
	v_mul_f32_e32 v33, v41, v147
	v_fma_f32 v27, v32, v141, -v2
	v_mul_f32_e32 v2, v41, v146
	v_fmac_f32_e32 v30, v34, v142
	v_fma_f32 v31, v34, v143, -v4
	s_waitcnt vmcnt(4)
	v_mul_f32_e32 v34, v43, v145
	v_mul_f32_e32 v4, v43, v144
	v_fma_f32 v35, v40, v147, -v2
	s_waitcnt vmcnt(2)
	v_mul_f32_e32 v43, v51, v149
	v_mul_f32_e32 v2, v51, v148
	v_fmac_f32_e32 v33, v40, v146
	v_fma_f32 v40, v42, v145, -v4
	s_waitcnt vmcnt(0) lgkmcnt(1)
	v_mul_f32_e32 v4, v53, v154
	v_fmac_f32_e32 v43, v50, v148
	v_fma_f32 v41, v50, v149, -v2
	s_clause 0x7
	buffer_load_dword v48, off, s[16:19], 0 offset:32
	buffer_load_dword v49, off, s[16:19], 0 offset:36
	;; [unrolled: 1-line block ×8, first 2 shown]
	v_mul_f32_e32 v44, v53, v155
	v_fma_f32 v45, v52, v155, -v4
	v_fmac_f32_e32 v29, v32, v140
	v_sub_f32_e32 v32, v15, v17
	v_add_f32_e32 v15, v125, v15
	v_fmac_f32_e32 v125, -0.5, v28
	v_add_f32_e32 v28, v21, v22
	v_fmac_f32_e32 v34, v42, v144
	v_sub_f32_e32 v42, v25, v26
	v_sub_f32_e32 v46, v27, v31
	s_waitcnt vmcnt(0) lgkmcnt(0)
	s_barrier
	buffer_gl0_inv
	v_sub_f32_e32 v121, v35, v40
	v_fmac_f32_e32 v44, v52, v154
	v_mul_f32_e32 v2, v49, v158
	v_mul_f32_e32 v4, v51, v156
	;; [unrolled: 1-line block ×5, first 2 shown]
	v_fma_f32 v53, v48, v159, -v2
	v_mul_f32_e32 v2, v69, v160
	v_fma_f32 v55, v50, v157, -v4
	v_mul_f32_e32 v4, v71, v162
	v_fmac_f32_e32 v47, v48, v158
	v_fmac_f32_e32 v52, v50, v156
	v_fma_f32 v119, v68, v161, -v2
	v_add_f32_e32 v2, v12, v14
	v_fma_f32 v120, v70, v163, -v4
	v_add_f32_e32 v4, v6, v14
	v_sub_f32_e32 v12, v12, v14
	v_add_f32_e32 v14, v16, v13
	v_fma_f32 v2, -0.5, v2, v122
	v_sub_f32_e32 v122, v41, v45
	v_mul_f32_e32 v118, v71, v163
	v_fmamk_f32 v7, v12, 0x3f5db3d7, v3
	v_fmac_f32_e32 v3, 0xbf5db3d7, v12
	v_fmamk_f32 v6, v18, 0xbf5db3d7, v2
	v_fmac_f32_e32 v2, 0x3f5db3d7, v18
	v_add_f32_e32 v18, v124, v16
	v_fma_f32 v124, -0.5, v14, v124
	v_sub_f32_e32 v16, v16, v13
	v_fmac_f32_e32 v54, v68, v160
	v_fmac_f32_e32 v118, v70, v162
	v_add_f32_e32 v12, v18, v13
	v_fmamk_f32 v14, v32, 0xbf5db3d7, v124
	v_fmac_f32_e32 v124, 0x3f5db3d7, v32
	v_add_f32_e32 v13, v15, v17
	v_add_f32_e32 v17, v19, v20
	v_sub_f32_e32 v32, v21, v22
	v_add_f32_e32 v21, v127, v21
	v_fmamk_f32 v15, v16, 0x3f5db3d7, v125
	v_add_f32_e32 v18, v126, v19
	v_fmac_f32_e32 v125, 0xbf5db3d7, v16
	v_fma_f32 v16, -0.5, v17, v126
	v_fma_f32 v17, -0.5, v28, v127
	v_sub_f32_e32 v28, v19, v20
	v_add_f32_e32 v19, v21, v22
	v_add_f32_e32 v22, v23, v24
	;; [unrolled: 1-line block ×3, first 2 shown]
	v_fmamk_f32 v20, v32, 0xbf5db3d7, v16
	v_fmac_f32_e32 v16, 0x3f5db3d7, v32
	v_fmamk_f32 v21, v28, 0x3f5db3d7, v17
	v_add_f32_e32 v32, v128, v23
	v_fmac_f32_e32 v17, 0xbf5db3d7, v28
	v_add_f32_e32 v28, v25, v26
	v_fma_f32 v128, -0.5, v22, v128
	v_add_f32_e32 v25, v129, v25
	v_add_f32_e32 v22, v32, v24
	v_add_f32_e32 v32, v130, v29
	v_fmac_f32_e32 v129, -0.5, v28
	v_sub_f32_e32 v28, v23, v24
	v_fmamk_f32 v24, v42, 0xbf5db3d7, v128
	v_fmac_f32_e32 v128, 0x3f5db3d7, v42
	v_add_f32_e32 v23, v25, v26
	v_add_f32_e32 v26, v29, v30
	;; [unrolled: 1-line block ×3, first 2 shown]
	v_fmamk_f32 v25, v28, 0x3f5db3d7, v129
	v_fmac_f32_e32 v129, 0xbf5db3d7, v28
	v_add_f32_e32 v28, v32, v30
	v_fma_f32 v26, -0.5, v26, v130
	v_add_f32_e32 v32, v131, v27
	v_fma_f32 v27, -0.5, v42, v131
	v_sub_f32_e32 v42, v29, v30
	v_sub_f32_e32 v123, v53, v55
	v_fmamk_f32 v30, v46, 0xbf5db3d7, v26
	v_fmac_f32_e32 v26, 0x3f5db3d7, v46
	v_add_f32_e32 v29, v32, v31
	v_fmamk_f32 v31, v42, 0x3f5db3d7, v27
	v_fmac_f32_e32 v27, 0xbf5db3d7, v42
	ds_write2_b64 v210, v[4:5], v[6:7] offset1:17
	ds_write_b64 v210, v[2:3] offset:272
	ds_write2_b64 v211, v[12:13], v[14:15] offset1:17
	ds_write_b64 v211, v[124:125] offset:272
	;; [unrolled: 2-line block ×5, first 2 shown]
	buffer_load_dword v2, off, s[16:19], 0 offset:104 ; 4-byte Folded Reload
	v_add_f32_e32 v32, v33, v34
	v_add_f32_e32 v46, v132, v33
	;; [unrolled: 1-line block ×4, first 2 shown]
	v_fma_f32 v132, -0.5, v32, v132
	v_add_f32_e32 v32, v46, v34
	v_fmac_f32_e32 v133, -0.5, v42
	v_sub_f32_e32 v42, v33, v34
	v_add_f32_e32 v46, v150, v43
	v_fmamk_f32 v34, v121, 0xbf5db3d7, v132
	v_fmac_f32_e32 v132, 0x3f5db3d7, v121
	v_add_f32_e32 v121, v41, v45
	v_add_f32_e32 v33, v35, v40
	v_fmamk_f32 v35, v42, 0x3f5db3d7, v133
	v_fmac_f32_e32 v133, 0xbf5db3d7, v42
	v_add_f32_e32 v42, v46, v44
	v_add_f32_e32 v46, v151, v41
	v_fma_f32 v41, -0.5, v121, v151
	v_sub_f32_e32 v121, v43, v44
	v_add_f32_e32 v40, v43, v44
	v_add_f32_e32 v43, v46, v45
	;; [unrolled: 1-line block ×3, first 2 shown]
	v_fmamk_f32 v45, v121, 0x3f5db3d7, v41
	v_fmac_f32_e32 v41, 0xbf5db3d7, v121
	v_add_f32_e32 v121, v53, v55
	v_fma_f32 v40, -0.5, v40, v150
	v_add_f32_e32 v53, v153, v53
	v_fmac_f32_e32 v153, -0.5, v121
	v_sub_f32_e32 v121, v47, v52
	v_fmamk_f32 v44, v122, 0xbf5db3d7, v40
	v_fmac_f32_e32 v40, 0x3f5db3d7, v122
	v_add_f32_e32 v122, v152, v47
	v_add_f32_e32 v47, v53, v55
	v_add_f32_e32 v55, v54, v118
	v_fmamk_f32 v53, v121, 0x3f5db3d7, v153
	v_fmac_f32_e32 v153, 0xbf5db3d7, v121
	v_add_f32_e32 v121, v119, v120
	v_fma_f32 v152, -0.5, v46, v152
	v_add_f32_e32 v46, v122, v52
	v_add_f32_e32 v122, v0, v54
	v_fma_f32 v0, -0.5, v55, v0
	v_sub_f32_e32 v55, v119, v120
	v_add_f32_e32 v119, v1, v119
	v_fmac_f32_e32 v1, -0.5, v121
	v_sub_f32_e32 v121, v54, v118
	v_fmamk_f32 v52, v123, 0xbf5db3d7, v152
	v_add_f32_e32 v54, v122, v118
	v_fmamk_f32 v118, v55, 0xbf5db3d7, v0
	v_fmac_f32_e32 v0, 0x3f5db3d7, v55
	v_add_f32_e32 v55, v119, v120
	v_fmamk_f32 v119, v121, 0x3f5db3d7, v1
	v_fmac_f32_e32 v1, 0xbf5db3d7, v121
	v_fmac_f32_e32 v152, 0x3f5db3d7, v123
	s_waitcnt vmcnt(0)
	ds_write2_b64 v2, v[32:33], v[34:35] offset1:17
	ds_write_b64 v2, v[132:133] offset:272
	ds_write2_b64 v72, v[42:43], v[44:45] offset1:17
	ds_write_b64 v72, v[40:41] offset:272
	;; [unrolled: 2-line block ×4, first 2 shown]
	s_waitcnt lgkmcnt(0)
	s_barrier
	buffer_gl0_inv
	ds_read2_b64 v[0:3], v223 offset0:102 offset1:153
	ds_read2_b64 v[12:15], v116 offset0:50 offset1:101
	ds_read2_b64 v[16:19], v116 offset0:152 offset1:203
	ds_read2_b64 v[20:23], v11 offset0:100 offset1:151
	ds_read2_b64 v[4:7], v223 offset1:51
	ds_read2_b64 v[24:27], v11 offset0:202 offset1:253
	ds_read2_b64 v[28:31], v10 offset0:150 offset1:201
	;; [unrolled: 1-line block ×8, first 2 shown]
	ds_read_b64 v[126:127], v223 offset:10608
	s_clause 0x3
	buffer_load_dword v48, off, s[16:19], 0 offset:140
	buffer_load_dword v49, off, s[16:19], 0 offset:144
	;; [unrolled: 1-line block ×4, first 2 shown]
	s_waitcnt lgkmcnt(13)
	v_mul_f32_e32 v128, v37, v3
	v_mul_f32_e32 v129, v37, v2
	s_waitcnt lgkmcnt(11)
	v_mul_f32_e32 v130, v57, v19
	v_mul_f32_e32 v131, v57, v18
	s_waitcnt lgkmcnt(10)
	v_mul_f32_e32 v132, v59, v21
	v_fmac_f32_e32 v128, v36, v2
	v_fma_f32 v2, v36, v3, -v129
	v_mul_f32_e32 v3, v39, v13
	v_mul_f32_e32 v129, v39, v12
	v_fmac_f32_e32 v130, v56, v18
	v_fma_f32 v18, v56, v19, -v131
	s_waitcnt lgkmcnt(8)
	v_mul_f32_e32 v131, v61, v27
	v_fmac_f32_e32 v3, v38, v12
	v_mul_f32_e32 v12, v59, v20
	v_fma_f32 v129, v38, v13, -v129
	v_mul_f32_e32 v13, v61, v26
	s_waitcnt lgkmcnt(7)
	v_mul_f32_e32 v19, v63, v29
	v_fmac_f32_e32 v132, v58, v20
	v_fma_f32 v133, v58, v21, -v12
	s_waitcnt lgkmcnt(6)
	v_mul_f32_e32 v12, v65, v34
	v_mul_f32_e32 v20, v63, v28
	v_fmac_f32_e32 v131, v60, v26
	v_fma_f32 v26, v60, v27, -v13
	v_fmac_f32_e32 v19, v62, v28
	v_mul_f32_e32 v21, v65, v35
	s_waitcnt lgkmcnt(5)
	v_mul_f32_e32 v13, v67, v40
	s_waitcnt lgkmcnt(4)
	v_mul_f32_e32 v134, v37, v45
	v_fma_f32 v28, v64, v35, -v12
	v_mul_f32_e32 v12, v37, v44
	v_fma_f32 v20, v62, v29, -v20
	v_fmac_f32_e32 v21, v64, v34
	v_fma_f32 v29, v66, v41, -v13
	v_fmac_f32_e32 v134, v36, v44
	v_mul_f32_e32 v34, v39, v15
	v_mul_f32_e32 v13, v39, v14
	v_fma_f32 v36, v36, v45, -v12
	v_mul_f32_e32 v12, v59, v22
	v_mul_f32_e32 v27, v67, v41
	v_fmac_f32_e32 v34, v38, v14
	v_fma_f32 v38, v38, v15, -v13
	s_waitcnt lgkmcnt(2)
	v_mul_f32_e32 v44, v61, v119
	v_mul_f32_e32 v13, v61, v118
	;; [unrolled: 1-line block ×3, first 2 shown]
	v_fma_f32 v41, v58, v23, -v12
	v_mul_f32_e32 v12, v63, v30
	v_fmac_f32_e32 v27, v66, v40
	v_mul_f32_e32 v40, v59, v23
	v_fmac_f32_e32 v44, v60, v118
	v_fma_f32 v45, v60, v119, -v13
	v_fmac_f32_e32 v39, v62, v30
	v_fma_f32 v31, v62, v31, -v12
	s_clause 0x3
	buffer_load_dword v59, off, s[16:19], 0 offset:156
	buffer_load_dword v60, off, s[16:19], 0 offset:160
	;; [unrolled: 1-line block ×4, first 2 shown]
	v_mul_f32_e32 v35, v57, v53
	v_mul_f32_e32 v37, v57, v52
	s_waitcnt lgkmcnt(1)
	v_mul_f32_e32 v13, v65, v122
	v_mul_f32_e32 v30, v65, v123
	;; [unrolled: 1-line block ×3, first 2 shown]
	v_fmac_f32_e32 v35, v56, v52
	v_fma_f32 v37, v56, v53, -v37
	v_fma_f32 v53, v64, v123, -v13
	v_fmac_f32_e32 v30, v64, v122
	v_mul_f32_e32 v52, v67, v43
	v_fmac_f32_e32 v40, v58, v22
	v_add_f32_e32 v67, v133, v26
	v_fmac_f32_e32 v52, v66, v42
	v_fma_f32 v42, v66, v43, -v14
	v_add_f32_e32 v43, v3, v21
	v_add_f32_e32 v66, v132, v131
	s_waitcnt vmcnt(6)
	v_mul_f32_e32 v56, v49, v47
	v_mul_f32_e32 v12, v49, v46
	s_waitcnt vmcnt(4)
	v_mul_f32_e32 v13, v51, v16
	v_mul_f32_e32 v57, v51, v17
	v_fmac_f32_e32 v56, v48, v46
	v_fma_f32 v46, v48, v47, -v12
	v_fma_f32 v47, v50, v17, -v13
	v_fmac_f32_e32 v57, v50, v16
	s_waitcnt vmcnt(0)
	v_mul_f32_e32 v13, v62, v25
	v_mul_f32_e32 v15, v62, v24
	s_clause 0x7
	buffer_load_dword v62, off, s[16:19], 0 offset:172
	buffer_load_dword v63, off, s[16:19], 0 offset:176
	;; [unrolled: 1-line block ×8, first 2 shown]
	v_mul_f32_e32 v58, v60, v55
	v_mul_f32_e32 v14, v60, v54
	v_fmac_f32_e32 v13, v61, v24
	v_fma_f32 v15, v61, v25, -v15
	v_sub_f32_e32 v24, v128, v27
	v_fmac_f32_e32 v58, v59, v54
	v_fma_f32 v54, v59, v55, -v14
	v_add_f32_e32 v25, v128, v27
	v_sub_f32_e32 v27, v2, v29
	v_add_f32_e32 v29, v2, v29
	v_mul_f32_e32 v23, 0x3f248dbb, v24
	v_sub_f32_e32 v61, v18, v20
	v_add_f32_e32 v68, v43, v25
	v_mul_f32_e32 v2, 0x3f248dbb, v27
	s_waitcnt vmcnt(0) lgkmcnt(0)
	s_barrier
	buffer_gl0_inv
	v_add_f32_e32 v72, v66, v68
	v_mul_f32_e32 v16, v63, v120
	v_mul_f32_e32 v55, v65, v33
	;; [unrolled: 1-line block ×5, first 2 shown]
	v_fma_f32 v14, v62, v121, -v16
	v_mul_f32_e32 v16, v65, v32
	v_fmac_f32_e32 v55, v64, v32
	v_fmac_f32_e32 v59, v48, v124
	v_fma_f32 v48, v48, v125, -v17
	v_sub_f32_e32 v32, v3, v21
	v_fma_f32 v60, v64, v33, -v16
	v_sub_f32_e32 v33, v129, v28
	v_add_f32_e32 v28, v129, v28
	v_fmamk_f32 v17, v29, 0x3f441b7d, v5
	v_mul_f32_e32 v49, v51, v127
	v_mul_f32_e32 v22, v51, v126
	v_sub_f32_e32 v51, v130, v19
	v_fmac_f32_e32 v23, 0x3f7c1c5c, v32
	v_fmamk_f32 v3, v25, 0x3f441b7d, v4
	v_sub_f32_e32 v63, v132, v131
	v_add_f32_e32 v65, v18, v20
	v_fmac_f32_e32 v17, 0x3e31d0d4, v28
	v_fmac_f32_e32 v12, v62, v120
	;; [unrolled: 1-line block ×3, first 2 shown]
	v_add_f32_e32 v62, v130, v19
	v_fmac_f32_e32 v23, 0x3f5db3d7, v51
	v_sub_f32_e32 v64, v133, v26
	v_fmac_f32_e32 v3, 0x3e31d0d4, v43
	v_fmac_f32_e32 v17, -0.5, v65
	v_mul_f32_e32 v21, 0xbf248dbb, v63
	v_fmamk_f32 v18, v66, 0x3f441b7d, v4
	v_fmac_f32_e32 v2, 0x3f5db3d7, v61
	v_fmac_f32_e32 v23, 0x3eaf1d44, v63
	v_fmac_f32_e32 v3, -0.5, v62
	v_mul_f32_e32 v20, 0xbf248dbb, v64
	v_fmamk_f32 v19, v67, 0x3f441b7d, v5
	v_fmac_f32_e32 v21, 0x3f7c1c5c, v24
	v_fmac_f32_e32 v18, 0x3e31d0d4, v25
	;; [unrolled: 1-line block ×9, first 2 shown]
	v_fmac_f32_e32 v18, -0.5, v62
	v_add_f32_e32 v17, v23, v17
	v_fma_f32 v50, v50, v127, -v22
	v_add_f32_e32 v22, v63, v24
	v_mul_f32_e32 v63, 0x3f7c1c5c, v63
	v_fmac_f32_e32 v20, 0xbf5db3d7, v61
	v_fmac_f32_e32 v19, -0.5, v65
	v_sub_f32_e32 v16, v3, v2
	v_fmac_f32_e32 v21, 0x3eaf1d44, v32
	v_fmac_f32_e32 v18, 0xbf708fb2, v43
	v_fma_f32 v3, -2.0, v23, v17
	v_add_f32_e32 v23, v64, v27
	v_sub_f32_e32 v69, v22, v32
	v_add_f32_e32 v71, v28, v29
	v_mul_f32_e32 v64, 0x3f7c1c5c, v64
	v_fma_f32 v32, 0xbf248dbb, v32, -v63
	v_fmamk_f32 v43, v43, 0x3f441b7d, v4
	v_fmac_f32_e32 v20, 0x3eaf1d44, v33
	v_fmac_f32_e32 v19, 0xbf708fb2, v28
	v_sub_f32_e32 v70, v23, v33
	v_fma_f32 v33, 0xbf248dbb, v33, -v64
	v_fmamk_f32 v28, v28, 0x3f441b7d, v5
	v_fmac_f32_e32 v32, 0x3f5db3d7, v51
	v_fmac_f32_e32 v43, 0x3e31d0d4, v66
	v_add_f32_e32 v51, v65, v71
	v_add_f32_e32 v22, v62, v4
	v_fmac_f32_e32 v33, 0x3f5db3d7, v61
	v_fmac_f32_e32 v28, 0x3e31d0d4, v67
	v_fmac_f32_e32 v43, -0.5, v62
	v_add_f32_e32 v51, v133, v51
	v_add_f32_e32 v23, v65, v5
	;; [unrolled: 1-line block ×3, first 2 shown]
	v_fmac_f32_e32 v22, -0.5, v72
	v_fmac_f32_e32 v32, 0x3eaf1d44, v24
	v_add_f32_e32 v24, v62, v68
	v_fmac_f32_e32 v28, -0.5, v65
	v_fmac_f32_e32 v33, 0x3eaf1d44, v27
	v_fmac_f32_e32 v43, 0xbf708fb2, v25
	v_add_f32_e32 v51, v26, v51
	v_mul_f32_e32 v72, 0x3f5db3d7, v70
	v_fmac_f32_e32 v23, -0.5, v74
	v_fmac_f32_e32 v22, 0xbf5db3d7, v70
	v_add_f32_e32 v27, v132, v24
	v_fmac_f32_e32 v28, 0xbf708fb2, v29
	v_sub_f32_e32 v26, v43, v33
	v_add_f32_e32 v5, v51, v5
	v_sub_f32_e32 v43, v134, v52
	v_sub_f32_e32 v51, v36, v42
	v_add_f32_e32 v42, v36, v42
	v_sub_f32_e32 v67, v40, v44
	v_sub_f32_e32 v68, v41, v45
	v_add_f32_e32 v70, v40, v44
	v_add_f32_e32 v71, v41, v45
	v_mul_f32_e32 v73, 0x3f5db3d7, v69
	v_fmac_f32_e32 v23, 0x3f5db3d7, v69
	v_add_f32_e32 v29, v131, v27
	v_add_f32_e32 v27, v32, v28
	v_fma_f32 v28, 2.0, v33, v26
	v_add_f32_e32 v52, v134, v52
	v_sub_f32_e32 v61, v34, v30
	v_sub_f32_e32 v62, v38, v53
	v_mul_f32_e32 v33, 0x3f248dbb, v43
	v_sub_f32_e32 v63, v35, v39
	v_sub_f32_e32 v64, v37, v31
	v_add_f32_e32 v65, v34, v30
	v_add_f32_e32 v53, v38, v53
	;; [unrolled: 1-line block ×3, first 2 shown]
	v_fmamk_f32 v34, v42, 0x3f441b7d, v7
	v_add_f32_e32 v69, v37, v31
	v_mul_f32_e32 v36, 0xbf248dbb, v68
	v_fmamk_f32 v35, v70, 0x3f441b7d, v6
	v_mul_f32_e32 v37, 0xbf248dbb, v67
	v_fmamk_f32 v38, v71, 0x3f441b7d, v7
	v_fma_f32 v24, 2.0, v72, v22
	v_add_f32_e32 v4, v29, v4
	v_fma_f32 v29, -2.0, v32, v27
	v_mul_f32_e32 v32, 0x3f248dbb, v51
	v_fmac_f32_e32 v33, 0x3f7c1c5c, v61
	v_fmac_f32_e32 v34, 0x3e31d0d4, v53
	;; [unrolled: 1-line block ×6, first 2 shown]
	v_add_f32_e32 v39, v67, v43
	v_add_f32_e32 v72, v53, v42
	v_fma_f32 v25, -2.0, v73, v23
	v_fmac_f32_e32 v32, 0x3f7c1c5c, v62
	v_fmac_f32_e32 v33, 0x3f5db3d7, v63
	v_fmac_f32_e32 v34, -0.5, v69
	v_fmac_f32_e32 v36, 0xbf5db3d7, v64
	v_fmac_f32_e32 v35, -0.5, v66
	;; [unrolled: 2-line block ×3, first 2 shown]
	v_sub_f32_e32 v73, v39, v61
	v_add_f32_e32 v39, v69, v72
	v_fmac_f32_e32 v32, 0x3f5db3d7, v64
	v_fmamk_f32 v30, v52, 0x3f441b7d, v6
	v_fmac_f32_e32 v33, 0x3eaf1d44, v67
	v_fmac_f32_e32 v34, 0xbf708fb2, v71
	;; [unrolled: 1-line block ×6, first 2 shown]
	v_add_f32_e32 v41, v41, v39
	v_fmac_f32_e32 v30, 0x3e31d0d4, v65
	v_fmac_f32_e32 v32, 0x3eaf1d44, v68
	v_add_f32_e32 v31, v33, v34
	v_sub_f32_e32 v34, v35, v36
	v_add_f32_e32 v35, v37, v38
	v_add_f32_e32 v38, v68, v51
	;; [unrolled: 1-line block ×4, first 2 shown]
	v_mul_f32_e32 v67, 0x3f7c1c5c, v67
	v_mul_f32_e32 v68, 0x3f7c1c5c, v68
	v_fmamk_f32 v65, v65, 0x3f441b7d, v6
	v_add_f32_e32 v39, v69, v7
	v_add_f32_e32 v45, v71, v72
	;; [unrolled: 1-line block ×3, first 2 shown]
	v_fmac_f32_e32 v7, 0x3f441b7d, v53
	v_fma_f32 v53, 0xbf248dbb, v61, -v67
	v_fma_f32 v61, 0xbf248dbb, v62, -v68
	v_fmac_f32_e32 v65, 0x3e31d0d4, v70
	v_fmac_f32_e32 v39, -0.5, v45
	v_fmac_f32_e32 v7, 0x3e31d0d4, v71
	v_add_f32_e32 v45, v66, v74
	v_fmac_f32_e32 v61, 0x3f5db3d7, v64
	v_fmac_f32_e32 v65, -0.5, v66
	v_fmac_f32_e32 v53, 0x3f5db3d7, v63
	v_fmac_f32_e32 v7, -0.5, v69
	v_add_f32_e32 v40, v40, v45
	v_fmac_f32_e32 v61, 0x3eaf1d44, v51
	v_fmac_f32_e32 v65, 0xbf708fb2, v52
	v_sub_f32_e32 v75, v38, v62
	v_fmac_f32_e32 v7, 0xbf708fb2, v42
	v_add_f32_e32 v40, v44, v40
	v_add_f32_e32 v38, v66, v6
	v_sub_f32_e32 v42, v65, v61
	v_fmac_f32_e32 v53, 0x3eaf1d44, v43
	v_sub_f32_e32 v62, v46, v50
	v_add_f32_e32 v40, v40, v6
	v_fmac_f32_e32 v30, -0.5, v66
	v_fma_f32 v6, 2.0, v61, v42
	v_sub_f32_e32 v61, v56, v49
	v_add_f32_e32 v56, v56, v49
	v_add_f32_e32 v43, v53, v7
	v_sub_f32_e32 v63, v57, v59
	v_sub_f32_e32 v64, v47, v48
	v_mul_f32_e32 v51, 0x3f248dbb, v62
	v_add_f32_e32 v65, v46, v50
	v_add_f32_e32 v57, v57, v59
	;; [unrolled: 1-line block ×3, first 2 shown]
	v_fmamk_f32 v46, v56, 0x3f441b7d, v0
	v_sub_f32_e32 v68, v13, v12
	v_add_f32_e32 v71, v15, v14
	v_fmac_f32_e32 v30, 0xbf708fb2, v70
	v_add_f32_e32 v77, v70, v74
	v_fma_f32 v7, -2.0, v53, v43
	v_sub_f32_e32 v66, v58, v55
	v_sub_f32_e32 v67, v54, v60
	v_fmac_f32_e32 v51, 0x3f7c1c5c, v64
	v_add_f32_e32 v58, v58, v55
	v_add_f32_e32 v60, v54, v60
	v_fmac_f32_e32 v46, 0x3e31d0d4, v57
	v_add_f32_e32 v70, v13, v12
	v_mul_f32_e32 v53, 0xbf248dbb, v68
	v_fmamk_f32 v54, v71, 0x3f441b7d, v1
	v_add_f32_e32 v55, v68, v61
	v_add_f32_e32 v72, v59, v65
	v_mul_f32_e32 v76, 0x3f5db3d7, v73
	v_fmac_f32_e32 v39, 0x3f5db3d7, v73
	v_mul_f32_e32 v49, 0x3f248dbb, v61
	v_fmac_f32_e32 v51, 0x3f5db3d7, v67
	v_sub_f32_e32 v69, v15, v14
	v_fmac_f32_e32 v46, -0.5, v58
	v_fmamk_f32 v50, v70, 0x3f441b7d, v0
	v_fmac_f32_e32 v53, 0x3f7c1c5c, v61
	v_fmac_f32_e32 v54, 0x3e31d0d4, v65
	v_sub_f32_e32 v73, v55, v63
	v_add_f32_e32 v55, v60, v72
	v_fmac_f32_e32 v49, 0x3f7c1c5c, v63
	v_fmac_f32_e32 v51, 0x3eaf1d44, v69
	v_mul_f32_e32 v52, 0xbf248dbb, v69
	v_fmac_f32_e32 v46, 0xbf708fb2, v70
	v_fmac_f32_e32 v50, 0x3e31d0d4, v56
	;; [unrolled: 1-line block ×3, first 2 shown]
	v_fmac_f32_e32 v54, -0.5, v60
	v_add_f32_e32 v15, v15, v55
	v_fmac_f32_e32 v49, 0x3f5db3d7, v66
	v_fmac_f32_e32 v52, 0x3f7c1c5c, v62
	v_fmac_f32_e32 v50, -0.5, v58
	v_sub_f32_e32 v46, v46, v51
	v_fmac_f32_e32 v53, 0x3eaf1d44, v63
	v_fmac_f32_e32 v54, 0xbf708fb2, v59
	v_add_f32_e32 v14, v14, v15
	v_fmac_f32_e32 v38, -0.5, v77
	v_fmamk_f32 v47, v65, 0x3f441b7d, v1
	v_fmac_f32_e32 v49, 0x3eaf1d44, v68
	v_fmac_f32_e32 v52, 0xbf5db3d7, v67
	;; [unrolled: 1-line block ×3, first 2 shown]
	v_fma_f32 v48, 2.0, v51, v46
	v_add_f32_e32 v51, v53, v54
	v_add_f32_e32 v54, v69, v62
	;; [unrolled: 1-line block ×4, first 2 shown]
	v_mul_f32_e32 v68, 0x3f7c1c5c, v68
	v_mul_f32_e32 v69, 0x3f7c1c5c, v69
	v_add_f32_e32 v14, v14, v1
	v_fmamk_f32 v57, v57, 0x3f441b7d, v0
	v_fmac_f32_e32 v1, 0x3f441b7d, v59
	v_add_f32_e32 v15, v71, v72
	v_mul_f32_e32 v78, 0x3f5db3d7, v75
	v_fmac_f32_e32 v38, 0xbf5db3d7, v75
	v_fmac_f32_e32 v47, 0x3e31d0d4, v59
	;; [unrolled: 1-line block ×3, first 2 shown]
	v_sub_f32_e32 v75, v54, v64
	v_fma_f32 v63, 0xbf248dbb, v63, -v68
	v_fma_f32 v64, 0xbf248dbb, v64, -v69
	v_fmac_f32_e32 v57, 0x3e31d0d4, v70
	v_fmac_f32_e32 v1, 0x3e31d0d4, v71
	v_fmac_f32_e32 v55, -0.5, v15
	v_add_f32_e32 v15, v58, v74
	v_fmac_f32_e32 v47, -0.5, v60
	v_fmac_f32_e32 v63, 0x3f5db3d7, v66
	v_fmac_f32_e32 v64, 0x3f5db3d7, v67
	v_fmac_f32_e32 v57, -0.5, v58
	v_fmac_f32_e32 v1, -0.5, v60
	v_add_f32_e32 v54, v58, v0
	v_add_f32_e32 v77, v70, v74
	;; [unrolled: 1-line block ×3, first 2 shown]
	v_fmac_f32_e32 v47, 0xbf708fb2, v71
	v_fmac_f32_e32 v63, 0x3eaf1d44, v61
	;; [unrolled: 1-line block ×5, first 2 shown]
	v_sub_f32_e32 v18, v18, v20
	v_add_f32_e32 v19, v21, v19
	v_fmac_f32_e32 v54, -0.5, v77
	v_sub_f32_e32 v30, v30, v32
	v_add_f32_e32 v12, v12, v13
	v_add_f32_e32 v47, v49, v47
	v_sub_f32_e32 v56, v57, v64
	v_add_f32_e32 v57, v63, v1
	v_fma_f32 v20, 2.0, v20, v18
	v_fma_f32 v21, -2.0, v21, v19
	v_fma_f32 v44, 2.0, v78, v38
	v_fma_f32 v45, -2.0, v76, v39
	v_sub_f32_e32 v50, v50, v52
	v_mul_f32_e32 v76, 0x3f5db3d7, v73
	v_mul_f32_e32 v78, 0x3f5db3d7, v75
	v_fmac_f32_e32 v54, 0xbf5db3d7, v75
	v_fmac_f32_e32 v55, 0x3f5db3d7, v73
	v_fma_f32 v2, 2.0, v2, v16
	v_fma_f32 v32, 2.0, v32, v30
	v_fma_f32 v33, -2.0, v33, v31
	v_fma_f32 v36, 2.0, v36, v34
	v_fma_f32 v37, -2.0, v37, v35
	v_add_f32_e32 v13, v12, v0
	ds_write2_b64 v223, v[4:5], v[16:17] offset1:51
	ds_write2_b64 v223, v[18:19], v[22:23] offset0:102 offset1:153
	ds_write2_b64 v223, v[26:27], v[28:29] offset0:204 offset1:255
	;; [unrolled: 1-line block ×6, first 2 shown]
	v_add_nc_u32_e32 v2, 0x1800, v79
	v_add_nc_u32_e32 v3, 0x1c00, v79
	v_fma_f32 v49, -2.0, v49, v47
	v_fma_f32 v0, 2.0, v64, v56
	v_fma_f32 v1, -2.0, v63, v57
	v_add_nc_u32_e32 v4, 0x2000, v79
	v_fma_f32 v52, 2.0, v52, v50
	v_fma_f32 v53, -2.0, v53, v51
	v_fma_f32 v58, 2.0, v78, v54
	v_fma_f32 v59, -2.0, v76, v55
	ds_write2_b64 v11, v[6:7], v[44:45] offset0:202 offset1:253
	ds_write2_b64 v10, v[36:37], v[32:33] offset0:48 offset1:99
	;; [unrolled: 1-line block ×6, first 2 shown]
	ds_write_b64 v79, v[48:49] offset:10608
	s_waitcnt lgkmcnt(0)
	s_barrier
	buffer_gl0_inv
	ds_read2_b64 v[0:3], v116 offset0:152 offset1:203
	ds_read2_b64 v[4:7], v10 offset0:150 offset1:201
	ds_read2_b64 v[12:15], v117 offset0:126 offset1:177
	ds_read2_b64 v[16:19], v223 offset1:51
	ds_read2_b64 v[20:23], v223 offset0:102 offset1:153
	ds_read2_b64 v[24:27], v9 offset0:124 offset1:175
	;; [unrolled: 1-line block ×9, first 2 shown]
	ds_read_b64 v[56:57], v223 offset:10608
	s_waitcnt lgkmcnt(13)
	v_mul_f32_e32 v58, v81, v3
	s_waitcnt lgkmcnt(12)
	v_mul_f32_e32 v60, v83, v5
	v_mul_f32_e32 v59, v81, v2
	;; [unrolled: 1-line block ×3, first 2 shown]
	s_waitcnt lgkmcnt(11)
	v_mul_f32_e32 v62, v93, v15
	v_fmac_f32_e32 v58, v80, v2
	v_mul_f32_e32 v2, v83, v4
	v_fmac_f32_e32 v60, v82, v4
	v_mul_f32_e32 v4, v85, v12
	v_fma_f32 v3, v80, v3, -v59
	v_mul_f32_e32 v59, v85, v13
	v_fma_f32 v5, v82, v5, -v2
	;; [unrolled: 2-line block ×3, first 2 shown]
	v_mul_f32_e32 v4, v93, v14
	s_waitcnt lgkmcnt(7)
	v_mul_f32_e32 v66, v89, v29
	v_mul_f32_e32 v64, v95, v25
	v_fma_f32 v63, v86, v7, -v2
	v_mul_f32_e32 v2, v95, v24
	v_fma_f32 v65, v92, v15, -v4
	v_mul_f32_e32 v4, v89, v28
	v_fmac_f32_e32 v66, v88, v28
	v_mul_f32_e32 v67, v91, v27
	v_fma_f32 v25, v94, v25, -v2
	v_mul_f32_e32 v2, v91, v26
	v_fma_f32 v28, v88, v29, -v4
	v_mul_f32_e32 v4, v101, v30
	v_mul_f32_e32 v68, v101, v31
	s_waitcnt lgkmcnt(4)
	v_mul_f32_e32 v70, v97, v41
	v_fma_f32 v27, v90, v27, -v2
	v_mul_f32_e32 v2, v103, v36
	v_fma_f32 v31, v100, v31, -v4
	v_mul_f32_e32 v4, v97, v40
	v_mul_f32_e32 v69, v103, v37
	v_fmac_f32_e32 v70, v96, v40
	v_fma_f32 v37, v102, v37, -v2
	v_mul_f32_e32 v2, v99, v38
	v_fma_f32 v40, v96, v41, -v4
	v_mul_f32_e32 v4, v109, v42
	v_mul_f32_e32 v71, v99, v39
	;; [unrolled: 1-line block ×3, first 2 shown]
	v_fma_f32 v39, v98, v39, -v2
	s_waitcnt lgkmcnt(2)
	v_mul_f32_e32 v2, v111, v48
	v_fma_f32 v43, v108, v43, -v4
	s_waitcnt lgkmcnt(1)
	v_mul_f32_e32 v74, v105, v53
	v_mul_f32_e32 v4, v105, v52
	;; [unrolled: 1-line block ×3, first 2 shown]
	v_fma_f32 v49, v110, v49, -v2
	v_mul_f32_e32 v2, v107, v50
	v_fmac_f32_e32 v74, v104, v52
	v_fma_f32 v52, v104, v53, -v4
	v_mul_f32_e32 v76, v113, v55
	v_mul_f32_e32 v4, v113, v54
	;; [unrolled: 1-line block ×3, first 2 shown]
	v_fma_f32 v51, v106, v51, -v2
	s_waitcnt lgkmcnt(0)
	v_mul_f32_e32 v2, v115, v56
	v_fmac_f32_e32 v76, v112, v54
	v_fma_f32 v54, v112, v55, -v4
	v_add_f32_e32 v4, v58, v60
	v_fmac_f32_e32 v59, v84, v12
	v_fmac_f32_e32 v61, v86, v6
	v_add_f32_e32 v6, v16, v58
	v_fma_f32 v55, v114, v57, -v2
	v_add_f32_e32 v7, v3, v5
	v_fma_f32 v2, -0.5, v4, v16
	v_sub_f32_e32 v12, v3, v5
	v_fmac_f32_e32 v62, v92, v14
	v_add_f32_e32 v4, v6, v60
	v_add_f32_e32 v14, v17, v3
	v_fma_f32 v3, -0.5, v7, v17
	v_sub_f32_e32 v15, v58, v60
	v_fmamk_f32 v6, v12, 0xbf5db3d7, v2
	v_fmac_f32_e32 v2, 0x3f5db3d7, v12
	v_add_f32_e32 v12, v59, v61
	v_fmac_f32_e32 v64, v94, v24
	v_add_f32_e32 v5, v14, v5
	v_fmamk_f32 v7, v15, 0x3f5db3d7, v3
	v_add_f32_e32 v14, v18, v59
	v_fmac_f32_e32 v3, 0xbf5db3d7, v15
	v_add_f32_e32 v15, v13, v63
	v_fma_f32 v18, -0.5, v12, v18
	v_sub_f32_e32 v16, v13, v63
	v_add_f32_e32 v12, v14, v61
	v_add_f32_e32 v13, v19, v13
	v_fmac_f32_e32 v19, -0.5, v15
	v_sub_f32_e32 v17, v59, v61
	v_fmamk_f32 v14, v16, 0xbf5db3d7, v18
	v_fmac_f32_e32 v18, 0x3f5db3d7, v16
	v_add_f32_e32 v16, v62, v64
	v_fmac_f32_e32 v67, v90, v26
	v_fmamk_f32 v15, v17, 0x3f5db3d7, v19
	v_add_f32_e32 v24, v20, v62
	v_fmac_f32_e32 v19, 0xbf5db3d7, v17
	v_add_f32_e32 v17, v65, v25
	v_fma_f32 v16, -0.5, v16, v20
	v_sub_f32_e32 v26, v65, v25
	v_fmac_f32_e32 v68, v100, v30
	v_add_f32_e32 v20, v24, v64
	v_add_f32_e32 v29, v21, v65
	v_fma_f32 v17, -0.5, v17, v21
	v_sub_f32_e32 v30, v62, v64
	v_fmamk_f32 v24, v26, 0xbf5db3d7, v16
	v_fmac_f32_e32 v16, 0x3f5db3d7, v26
	v_add_f32_e32 v26, v66, v67
	v_fmac_f32_e32 v69, v102, v36
	v_add_f32_e32 v21, v29, v25
	v_fmamk_f32 v25, v30, 0x3f5db3d7, v17
	v_add_f32_e32 v29, v22, v66
	v_fmac_f32_e32 v17, 0xbf5db3d7, v30
	v_add_f32_e32 v30, v28, v27
	v_fma_f32 v22, -0.5, v26, v22
	v_sub_f32_e32 v36, v28, v27
	v_fmac_f32_e32 v71, v98, v38
	v_add_f32_e32 v26, v29, v67
	v_add_f32_e32 v29, v23, v28
	v_fmac_f32_e32 v23, -0.5, v30
	v_sub_f32_e32 v30, v66, v67
	v_fmamk_f32 v28, v36, 0xbf5db3d7, v22
	v_fmac_f32_e32 v22, 0x3f5db3d7, v36
	v_add_f32_e32 v36, v68, v69
	v_add_f32_e32 v38, v32, v68
	v_fmac_f32_e32 v72, v108, v42
	v_add_f32_e32 v27, v29, v27
	v_fmamk_f32 v29, v30, 0x3f5db3d7, v23
	v_fmac_f32_e32 v23, 0xbf5db3d7, v30
	v_add_f32_e32 v41, v31, v37
	v_fma_f32 v30, -0.5, v36, v32
	v_sub_f32_e32 v42, v31, v37
	v_add_f32_e32 v32, v38, v69
	v_add_f32_e32 v38, v33, v31
	v_fma_f32 v31, -0.5, v41, v33
	v_sub_f32_e32 v41, v68, v69
	v_fmamk_f32 v36, v42, 0xbf5db3d7, v30
	v_fmac_f32_e32 v30, 0x3f5db3d7, v42
	v_add_f32_e32 v33, v38, v37
	v_add_f32_e32 v38, v70, v71
	v_add_f32_e32 v42, v34, v70
	v_fmac_f32_e32 v73, v110, v48
	v_fmamk_f32 v37, v41, 0x3f5db3d7, v31
	v_fmac_f32_e32 v31, 0xbf5db3d7, v41
	v_add_f32_e32 v41, v40, v39
	v_fma_f32 v34, -0.5, v38, v34
	v_add_f32_e32 v38, v42, v71
	v_add_f32_e32 v42, v35, v40
	v_fmac_f32_e32 v75, v106, v50
	v_mul_f32_e32 v77, v115, v57
	v_sub_f32_e32 v48, v40, v39
	v_fmac_f32_e32 v35, -0.5, v41
	v_sub_f32_e32 v50, v70, v71
	v_add_f32_e32 v39, v42, v39
	v_add_f32_e32 v42, v72, v73
	v_fmac_f32_e32 v77, v114, v56
	v_fmamk_f32 v40, v48, 0xbf5db3d7, v34
	v_fmac_f32_e32 v34, 0x3f5db3d7, v48
	v_fmamk_f32 v41, v50, 0x3f5db3d7, v35
	v_add_f32_e32 v48, v44, v72
	v_fmac_f32_e32 v35, 0xbf5db3d7, v50
	v_add_f32_e32 v50, v43, v49
	v_fma_f32 v42, -0.5, v42, v44
	v_sub_f32_e32 v53, v43, v49
	v_add_f32_e32 v56, v45, v43
	v_add_f32_e32 v44, v48, v73
	v_fma_f32 v43, -0.5, v50, v45
	v_sub_f32_e32 v50, v72, v73
	v_fmamk_f32 v48, v53, 0xbf5db3d7, v42
	v_fmac_f32_e32 v42, 0x3f5db3d7, v53
	v_add_f32_e32 v45, v56, v49
	v_add_f32_e32 v53, v74, v75
	;; [unrolled: 1-line block ×4, first 2 shown]
	v_fmamk_f32 v49, v50, 0x3f5db3d7, v43
	v_fmac_f32_e32 v43, 0xbf5db3d7, v50
	v_fma_f32 v46, -0.5, v53, v46
	v_sub_f32_e32 v53, v52, v51
	v_add_f32_e32 v50, v56, v75
	v_add_f32_e32 v56, v47, v52
	v_fmac_f32_e32 v47, -0.5, v57
	v_sub_f32_e32 v57, v74, v75
	v_fmamk_f32 v52, v53, 0xbf5db3d7, v46
	v_fmac_f32_e32 v46, 0x3f5db3d7, v53
	v_add_f32_e32 v51, v56, v51
	v_add_f32_e32 v56, v76, v77
	v_fmamk_f32 v53, v57, 0x3f5db3d7, v47
	v_fmac_f32_e32 v47, 0xbf5db3d7, v57
	v_add_f32_e32 v57, v54, v55
	v_add_f32_e32 v58, v0, v76
	v_fma_f32 v0, -0.5, v56, v0
	v_sub_f32_e32 v59, v54, v55
	v_add_f32_e32 v60, v1, v54
	v_fmac_f32_e32 v1, -0.5, v57
	v_sub_f32_e32 v61, v76, v77
	v_add_f32_e32 v13, v13, v63
	v_fmamk_f32 v56, v59, 0xbf5db3d7, v0
	v_fmac_f32_e32 v0, 0x3f5db3d7, v59
	v_add_f32_e32 v54, v58, v77
	v_fmamk_f32 v57, v61, 0x3f5db3d7, v1
	v_fmac_f32_e32 v1, 0xbf5db3d7, v61
	v_add_f32_e32 v55, v60, v55
	ds_write2_b64 v223, v[4:5], v[12:13] offset1:51
	ds_write2_b64 v10, v[2:3], v[18:19] offset0:150 offset1:201
	ds_write2_b64 v117, v[14:15], v[24:25] offset0:126 offset1:177
	ds_write2_b64 v223, v[20:21], v[26:27] offset0:102 offset1:153
	ds_write2_b64 v9, v[16:17], v[22:23] offset0:124 offset1:175
	ds_write2_b64 v11, v[28:29], v[36:37] offset0:100 offset1:151
	ds_write2_b64 v223, v[32:33], v[38:39] offset0:204 offset1:255
	ds_write2_b64 v8, v[30:31], v[34:35] offset0:98 offset1:149
	ds_write2_b64 v11, v[40:41], v[48:49] offset0:202 offset1:253
	ds_write2_b64 v116, v[44:45], v[50:51] offset0:50 offset1:101
	ds_write2_b64 v8, v[42:43], v[46:47] offset0:200 offset1:251
	ds_write2_b64 v116, v[54:55], v[6:7] offset0:152 offset1:203
	ds_write2_b64 v10, v[52:53], v[56:57] offset0:48 offset1:99
	ds_write_b64 v223, v[0:1] offset:10608
	s_waitcnt lgkmcnt(0)
	s_barrier
	buffer_gl0_inv
	ds_read2_b64 v[0:3], v223 offset1:81
	v_mad_u64_u32 v[12:13], null, s10, v204, 0
	v_mad_u64_u32 v[18:19], null, s8, v205, 0
	s_waitcnt lgkmcnt(0)
	v_mul_f32_e32 v4, v217, v1
	v_mul_f32_e32 v5, v217, v0
	;; [unrolled: 1-line block ×3, first 2 shown]
	v_fmac_f32_e32 v4, v216, v0
	v_fma_f32 v5, v216, v1, -v5
	v_fmac_f32_e32 v6, v214, v2
	v_cvt_f64_f32_e32 v[0:1], v4
	v_cvt_f64_f32_e32 v[4:5], v5
	;; [unrolled: 1-line block ×3, first 2 shown]
	v_mul_f64 v[14:15], v[0:1], s[4:5]
	v_mul_f32_e32 v0, v215, v2
	v_mul_f64 v[16:17], v[4:5], s[4:5]
	v_mov_b32_e32 v4, v13
	v_fma_f32 v5, v214, v3, -v0
	ds_read2_b64 v[0:3], v223 offset0:162 offset1:243
	v_cvt_f64_f32_e32 v[22:23], v5
	v_mov_b32_e32 v5, v19
	v_mad_u64_u32 v[24:25], null, s11, v204, v[4:5]
	v_mad_u64_u32 v[25:26], null, s9, v205, v[5:6]
	ds_read2_b64 v[4:7], v116 offset0:68 offset1:149
	s_clause 0x1
	buffer_load_dword v32, off, s[16:19], 0 offset:24
	buffer_load_dword v33, off, s[16:19], 0 offset:28
	v_cvt_f32_f64_e32 v14, v[14:15]
	v_cvt_f32_f64_e32 v15, v[16:17]
	v_mov_b32_e32 v13, v24
	s_waitcnt lgkmcnt(1)
	v_mul_f32_e32 v24, v207, v1
	v_mov_b32_e32 v19, v25
	v_mul_f32_e32 v25, v209, v2
	v_lshlrev_b64 v[12:13], 3, v[12:13]
	v_mul_f32_e32 v26, v209, v3
	v_fmac_f32_e32 v24, v206, v0
	v_mul_f32_e32 v0, v207, v0
	v_lshlrev_b64 v[16:17], 3, v[18:19]
	v_mul_f64 v[18:19], v[20:21], s[4:5]
	v_mul_f64 v[20:21], v[22:23], s[4:5]
	v_cvt_f64_f32_e32 v[22:23], v24
	v_fma_f32 v0, v206, v1, -v0
	v_fma_f32 v1, v208, v3, -v25
	v_add_co_u32 v12, s0, s2, v12
	v_add_co_ci_u32_e64 v13, s0, s3, v13, s0
	v_cvt_f64_f32_e32 v[24:25], v0
	v_fmac_f32_e32 v26, v208, v2
	v_add_co_u32 v12, s0, v12, v16
	v_add_co_ci_u32_e64 v13, s0, v13, v17, s0
	v_cvt_f64_f32_e32 v[28:29], v1
	v_cvt_f64_f32_e32 v[26:27], v26
	s_mul_i32 s0, s9, 0x51
	global_store_dwordx2 v[12:13], v[14:15], off
	s_add_i32 s1, s1, s0
	s_mul_i32 s0, s8, 0x51
	v_cvt_f32_f64_e32 v14, v[18:19]
	v_cvt_f32_f64_e32 v15, v[20:21]
	v_mul_f64 v[16:17], v[22:23], s[4:5]
	s_lshl_b64 s[2:3], s[0:1], 3
	v_add_co_u32 v12, s0, v12, s2
	v_add_co_ci_u32_e64 v13, s0, s3, v13, s0
	v_mul_f64 v[18:19], v[24:25], s[4:5]
	v_mul_f64 v[22:23], v[28:29], s[4:5]
	;; [unrolled: 1-line block ×3, first 2 shown]
	v_cvt_f32_f64_e32 v16, v[16:17]
	v_cvt_f32_f64_e32 v17, v[18:19]
	v_add_co_u32 v18, s0, v12, s2
	v_add_co_ci_u32_e64 v19, s0, s3, v13, s0
	v_cvt_f32_f64_e32 v20, v[20:21]
	v_cvt_f32_f64_e32 v21, v[22:23]
	s_waitcnt vmcnt(0) lgkmcnt(0)
	v_mul_f32_e32 v30, v33, v5
	v_mul_f32_e32 v2, v33, v4
	v_fmac_f32_e32 v30, v32, v4
	v_fma_f32 v0, v32, v5, -v2
	v_cvt_f64_f32_e32 v[30:31], v30
	v_cvt_f64_f32_e32 v[4:5], v0
	ds_read2_b64 v[0:3], v117 offset0:102 offset1:183
	s_clause 0x1
	buffer_load_dword v33, off, s[16:19], 0 offset:16
	buffer_load_dword v34, off, s[16:19], 0 offset:20
	v_mul_f64 v[24:25], v[30:31], s[4:5]
	s_clause 0x1
	buffer_load_dword v31, off, s[16:19], 0 offset:8
	buffer_load_dword v32, off, s[16:19], 0 offset:12
	v_mul_f64 v[26:27], v[4:5], s[4:5]
	s_waitcnt lgkmcnt(0)
	v_mul_f32_e32 v35, v219, v2
	v_cvt_f32_f64_e32 v22, v[24:25]
	v_cvt_f32_f64_e32 v23, v[26:27]
	s_waitcnt vmcnt(2)
	v_mul_f32_e32 v28, v34, v7
	v_mul_f32_e32 v29, v34, v6
	;; [unrolled: 1-line block ×3, first 2 shown]
	v_fmac_f32_e32 v28, v33, v6
	v_fma_f32 v5, v33, v7, -v29
	v_fmac_f32_e32 v34, v218, v2
	s_waitcnt vmcnt(0)
	v_mul_f32_e32 v4, v32, v0
	v_mul_f32_e32 v30, v32, v1
	v_fma_f32 v4, v31, v1, -v4
	v_fmac_f32_e32 v30, v31, v0
	v_cvt_f64_f32_e32 v[0:1], v28
	v_cvt_f64_f32_e32 v[28:29], v5
	;; [unrolled: 1-line block ×3, first 2 shown]
	ds_read2_b64 v[4:7], v11 offset0:136 offset1:217
	s_clause 0x1
	buffer_load_dword v36, off, s[16:19], 0
	buffer_load_dword v37, off, s[16:19], 0 offset:4
	v_cvt_f64_f32_e32 v[30:31], v30
	v_mul_f64 v[24:25], v[0:1], s[4:5]
	v_mul_f64 v[26:27], v[28:29], s[4:5]
	v_fma_f32 v0, v218, v3, -v35
	v_mul_f64 v[28:29], v[30:31], s[4:5]
	v_mul_f64 v[30:31], v[32:33], s[4:5]
	v_cvt_f64_f32_e32 v[32:33], v34
	v_cvt_f64_f32_e32 v[34:35], v0
	s_waitcnt vmcnt(0) lgkmcnt(0)
	v_mul_f32_e32 v1, v37, v5
	v_mul_f32_e32 v2, v37, v4
	v_fmac_f32_e32 v1, v36, v4
	v_add_co_u32 v4, s0, v18, s2
	v_fma_f32 v0, v36, v5, -v2
	v_add_co_ci_u32_e64 v5, s0, s3, v19, s0
	v_add_co_u32 v40, s0, v4, s2
	v_cvt_f64_f32_e32 v[36:37], v1
	v_add_co_ci_u32_e64 v41, s0, s3, v5, s0
	v_cvt_f64_f32_e32 v[38:39], v0
	ds_read2_b64 v[0:3], v10 offset0:42 offset1:123
	global_store_dwordx2 v[12:13], v[14:15], off
	global_store_dwordx2 v[18:19], v[16:17], off
	;; [unrolled: 1-line block ×4, first 2 shown]
	v_cvt_f32_f64_e32 v5, v[26:27]
	v_cvt_f32_f64_e32 v12, v[28:29]
	s_clause 0x1
	buffer_load_dword v27, off, s[16:19], 0 offset:96
	buffer_load_dword v28, off, s[16:19], 0 offset:100
	v_cvt_f32_f64_e32 v4, v[24:25]
	v_cvt_f32_f64_e32 v13, v[30:31]
	v_mul_f64 v[14:15], v[32:33], s[4:5]
	v_add_co_u32 v18, s0, v40, s2
	v_add_co_ci_u32_e64 v19, s0, s3, v41, s0
	v_mul_f64 v[16:17], v[34:35], s[4:5]
	v_add_co_u32 v24, s0, v18, s2
	v_add_co_ci_u32_e64 v25, s0, s3, v19, s0
	v_mul_f64 v[20:21], v[36:37], s[4:5]
	s_waitcnt lgkmcnt(0)
	v_mul_f32_e32 v29, v213, v0
	v_mul_f64 v[22:23], v[38:39], s[4:5]
	v_mul_f32_e32 v32, v203, v3
	v_mul_f32_e32 v33, v203, v2
	global_store_dwordx2 v[18:19], v[4:5], off
	global_store_dwordx2 v[24:25], v[12:13], off
	v_cvt_f32_f64_e32 v30, v[14:15]
	ds_read2_b64 v[12:15], v8 offset0:110 offset1:191
	v_fmac_f32_e32 v32, v202, v2
	v_fma_f32 v33, v202, v3, -v33
	v_cvt_f32_f64_e32 v31, v[16:17]
	v_add_co_u32 v16, s0, v24, s2
	v_add_co_ci_u32_e64 v17, s0, s3, v25, s0
	v_cvt_f32_f64_e32 v20, v[20:21]
	v_cvt_f32_f64_e32 v21, v[22:23]
	v_add_co_u32 v22, s0, v16, s2
	v_add_co_ci_u32_e64 v23, s0, s3, v17, s0
	s_waitcnt lgkmcnt(0)
	v_mul_f32_e32 v38, v193, v13
	v_mul_f32_e32 v40, v199, v15
	;; [unrolled: 1-line block ×3, first 2 shown]
	v_fmac_f32_e32 v38, v192, v12
	v_mul_f32_e32 v12, v193, v12
	v_fmac_f32_e32 v40, v198, v14
	v_fma_f32 v41, v198, v15, -v41
	v_cvt_f64_f32_e32 v[38:39], v38
	v_fma_f32 v12, v192, v13, -v12
	v_cvt_f64_f32_e32 v[14:15], v40
	v_cvt_f64_f32_e32 v[12:13], v12
	v_mul_f64 v[14:15], v[14:15], s[4:5]
	v_mul_f64 v[12:13], v[12:13], s[4:5]
	s_waitcnt vmcnt(0)
	v_mul_f32_e32 v26, v28, v7
	v_fmac_f32_e32 v26, v27, v6
	v_mul_f32_e32 v6, v28, v6
	v_mul_f32_e32 v28, v213, v1
	v_fma_f32 v6, v27, v7, -v6
	v_fmac_f32_e32 v28, v212, v0
	v_fma_f32 v7, v212, v1, -v29
	v_cvt_f64_f32_e32 v[26:27], v26
	v_cvt_f64_f32_e32 v[0:1], v6
	;; [unrolled: 1-line block ×4, first 2 shown]
	ds_read2_b64 v[4:7], v9 offset0:76 offset1:157
	v_mul_f64 v[24:25], v[26:27], s[4:5]
	v_cvt_f64_f32_e32 v[26:27], v32
	v_mul_f64 v[0:1], v[0:1], s[4:5]
	v_mul_f64 v[2:3], v[18:19], s[4:5]
	;; [unrolled: 1-line block ×3, first 2 shown]
	ds_read_b64 v[28:29], v223 offset:10368
	s_waitcnt lgkmcnt(1)
	v_mul_f32_e32 v34, v197, v5
	v_mul_f32_e32 v35, v197, v4
	v_cvt_f64_f32_e32 v[32:33], v33
	v_mul_f32_e32 v36, v195, v7
	v_mul_f32_e32 v37, v195, v6
	v_fmac_f32_e32 v34, v196, v4
	v_fma_f32 v35, v196, v5, -v35
	global_store_dwordx2 v[16:17], v[30:31], off
	global_store_dwordx2 v[22:23], v[20:21], off
	v_fmac_f32_e32 v36, v194, v6
	v_fma_f32 v37, v194, v7, -v37
	v_cvt_f64_f32_e32 v[4:5], v34
	v_cvt_f64_f32_e32 v[6:7], v35
	v_add_co_u32 v22, s0, v22, s2
	v_cvt_f64_f32_e32 v[34:35], v36
	v_cvt_f64_f32_e32 v[36:37], v37
	v_cvt_f32_f64_e32 v16, v[24:25]
	v_add_co_ci_u32_e64 v23, s0, s3, v23, s0
	s_waitcnt lgkmcnt(0)
	v_mul_f32_e32 v42, v201, v29
	v_mul_f32_e32 v43, v201, v28
	v_cvt_f32_f64_e32 v17, v[0:1]
	v_mul_f64 v[0:1], v[26:27], s[4:5]
	v_cvt_f32_f64_e32 v2, v[2:3]
	v_fmac_f32_e32 v42, v200, v28
	v_fma_f32 v43, v200, v29, -v43
	v_cvt_f64_f32_e32 v[28:29], v41
	v_mul_f64 v[20:21], v[32:33], s[4:5]
	v_cvt_f32_f64_e32 v3, v[18:19]
	v_cvt_f64_f32_e32 v[40:41], v42
	v_cvt_f64_f32_e32 v[42:43], v43
	v_mul_f64 v[26:27], v[38:39], s[4:5]
	v_mul_f64 v[4:5], v[4:5], s[4:5]
	;; [unrolled: 1-line block ×5, first 2 shown]
	v_add_co_u32 v34, s0, v22, s2
	v_add_co_ci_u32_e64 v35, s0, s3, v23, s0
	global_store_dwordx2 v[22:23], v[16:17], off
	v_cvt_f32_f64_e32 v0, v[0:1]
	v_mul_f64 v[28:29], v[28:29], s[4:5]
	v_cvt_f32_f64_e32 v1, v[20:21]
	v_add_co_u32 v20, s0, v34, s2
	v_mul_f64 v[30:31], v[40:41], s[4:5]
	v_mul_f64 v[32:33], v[42:43], s[4:5]
	v_add_co_ci_u32_e64 v21, s0, s3, v35, s0
	v_cvt_f32_f64_e32 v4, v[4:5]
	v_cvt_f32_f64_e32 v5, v[6:7]
	v_add_co_u32 v6, s0, v20, s2
	v_add_co_ci_u32_e64 v7, s0, s3, v21, s0
	v_cvt_f32_f64_e32 v18, v[18:19]
	v_cvt_f32_f64_e32 v19, v[24:25]
	;; [unrolled: 1-line block ×3, first 2 shown]
	v_add_co_u32 v26, s0, v6, s2
	v_cvt_f32_f64_e32 v25, v[12:13]
	v_add_co_ci_u32_e64 v27, s0, s3, v7, s0
	v_cvt_f32_f64_e32 v12, v[14:15]
	v_cvt_f32_f64_e32 v13, v[28:29]
	v_add_co_u32 v16, s0, v26, s2
	v_cvt_f32_f64_e32 v14, v[30:31]
	v_cvt_f32_f64_e32 v15, v[32:33]
	v_add_co_ci_u32_e64 v17, s0, s3, v27, s0
	global_store_dwordx2 v[34:35], v[2:3], off
	v_add_co_u32 v2, s0, v16, s2
	v_add_co_ci_u32_e64 v3, s0, s3, v17, s0
	global_store_dwordx2 v[20:21], v[0:1], off
	v_add_co_u32 v0, s0, v2, s2
	v_add_co_ci_u32_e64 v1, s0, s3, v3, s0
	global_store_dwordx2 v[6:7], v[4:5], off
	global_store_dwordx2 v[26:27], v[18:19], off
	;; [unrolled: 1-line block ×5, first 2 shown]
	s_and_b32 exec_lo, exec_lo, vcc_lo
	s_cbranch_execz .LBB0_15
; %bb.14:
	global_load_dwordx2 v[6:7], v[190:191], off offset:408
	ds_read2_b64 v[2:5], v223 offset0:51 offset1:132
	v_mad_u64_u32 v[0:1], null, 0xffffd918, s8, v[0:1]
	s_mul_i32 s0, s9, 0xffffd918
	s_sub_i32 s0, s0, s8
	v_add_nc_u32_e32 v1, s0, v1
	s_waitcnt vmcnt(0) lgkmcnt(0)
	v_mul_f32_e32 v12, v3, v7
	v_mul_f32_e32 v7, v2, v7
	v_fmac_f32_e32 v12, v2, v6
	v_fma_f32 v6, v6, v3, -v7
	v_cvt_f64_f32_e32 v[2:3], v12
	v_cvt_f64_f32_e32 v[6:7], v6
	v_mul_f64 v[2:3], v[2:3], s[4:5]
	v_mul_f64 v[6:7], v[6:7], s[4:5]
	v_cvt_f32_f64_e32 v2, v[2:3]
	v_cvt_f32_f64_e32 v3, v[6:7]
	global_store_dwordx2 v[0:1], v[2:3], off
	global_load_dwordx2 v[2:3], v[190:191], off offset:1056
	s_waitcnt vmcnt(0)
	v_mul_f32_e32 v6, v5, v3
	v_mul_f32_e32 v3, v4, v3
	v_fmac_f32_e32 v6, v4, v2
	v_fma_f32 v4, v2, v5, -v3
	v_cvt_f64_f32_e32 v[2:3], v6
	v_cvt_f64_f32_e32 v[4:5], v4
	v_mul_f64 v[2:3], v[2:3], s[4:5]
	v_mul_f64 v[4:5], v[4:5], s[4:5]
	v_cvt_f32_f64_e32 v2, v[2:3]
	v_cvt_f32_f64_e32 v3, v[4:5]
	v_add_co_u32 v4, vcc_lo, v0, s2
	v_add_co_ci_u32_e32 v5, vcc_lo, s3, v1, vcc_lo
	v_add_nc_u32_e32 v0, 0x400, v223
	global_store_dwordx2 v[4:5], v[2:3], off
	global_load_dwordx2 v[6:7], v[190:191], off offset:1704
	ds_read2_b64 v[0:3], v0 offset0:85 offset1:166
	v_add_co_u32 v4, vcc_lo, v4, s2
	v_add_co_ci_u32_e32 v5, vcc_lo, s3, v5, vcc_lo
	s_waitcnt vmcnt(0) lgkmcnt(0)
	v_mul_f32_e32 v12, v1, v7
	v_mul_f32_e32 v7, v0, v7
	v_fmac_f32_e32 v12, v0, v6
	v_fma_f32 v6, v6, v1, -v7
	v_cvt_f64_f32_e32 v[0:1], v12
	v_cvt_f64_f32_e32 v[6:7], v6
	v_mul_f64 v[0:1], v[0:1], s[4:5]
	v_mul_f64 v[6:7], v[6:7], s[4:5]
	v_cvt_f32_f64_e32 v0, v[0:1]
	v_cvt_f32_f64_e32 v1, v[6:7]
	global_store_dwordx2 v[4:5], v[0:1], off
	global_load_dwordx2 v[0:1], v[188:189], off offset:304
	v_add_co_u32 v4, vcc_lo, v4, s2
	v_add_co_ci_u32_e32 v5, vcc_lo, s3, v5, vcc_lo
	s_waitcnt vmcnt(0)
	v_mul_f32_e32 v6, v3, v1
	v_mul_f32_e32 v1, v2, v1
	v_fmac_f32_e32 v6, v2, v0
	v_fma_f32 v2, v0, v3, -v1
	v_cvt_f64_f32_e32 v[0:1], v6
	v_cvt_f64_f32_e32 v[2:3], v2
	v_mul_f64 v[0:1], v[0:1], s[4:5]
	v_mul_f64 v[2:3], v[2:3], s[4:5]
	v_cvt_f32_f64_e32 v0, v[0:1]
	v_cvt_f32_f64_e32 v1, v[2:3]
	global_store_dwordx2 v[4:5], v[0:1], off
	global_load_dwordx2 v[6:7], v[188:189], off offset:952
	ds_read2_b64 v[0:3], v116 offset0:119 offset1:200
	v_add_co_u32 v4, vcc_lo, v4, s2
	v_add_co_ci_u32_e32 v5, vcc_lo, s3, v5, vcc_lo
	s_waitcnt vmcnt(0) lgkmcnt(0)
	v_mul_f32_e32 v12, v1, v7
	v_mul_f32_e32 v7, v0, v7
	v_fmac_f32_e32 v12, v0, v6
	v_fma_f32 v6, v6, v1, -v7
	v_cvt_f64_f32_e32 v[0:1], v12
	v_cvt_f64_f32_e32 v[6:7], v6
	v_mul_f64 v[0:1], v[0:1], s[4:5]
	v_mul_f64 v[6:7], v[6:7], s[4:5]
	v_cvt_f32_f64_e32 v0, v[0:1]
	v_cvt_f32_f64_e32 v1, v[6:7]
	global_store_dwordx2 v[4:5], v[0:1], off
	global_load_dwordx2 v[0:1], v[188:189], off offset:1600
	v_add_co_u32 v4, vcc_lo, v4, s2
	v_add_co_ci_u32_e32 v5, vcc_lo, s3, v5, vcc_lo
	s_waitcnt vmcnt(0)
	v_mul_f32_e32 v6, v3, v1
	v_mul_f32_e32 v1, v2, v1
	v_fmac_f32_e32 v6, v2, v0
	v_fma_f32 v2, v0, v3, -v1
	v_cvt_f64_f32_e32 v[0:1], v6
	v_cvt_f64_f32_e32 v[2:3], v2
	v_mul_f64 v[0:1], v[0:1], s[4:5]
	v_mul_f64 v[2:3], v[2:3], s[4:5]
	v_cvt_f32_f64_e32 v0, v[0:1]
	v_cvt_f32_f64_e32 v1, v[2:3]
	;; [unrolled: 31-line block ×3, first 2 shown]
	global_store_dwordx2 v[4:5], v[0:1], off
	global_load_dwordx2 v[6:7], v[186:187], off offset:1496
	v_add_nc_u32_e32 v0, 0x1400, v223
	v_add_co_u32 v4, vcc_lo, v4, s2
	v_add_co_ci_u32_e32 v5, vcc_lo, s3, v5, vcc_lo
	ds_read2_b64 v[0:3], v0 offset0:59 offset1:140
	s_waitcnt vmcnt(0) lgkmcnt(0)
	v_mul_f32_e32 v11, v1, v7
	v_mul_f32_e32 v7, v0, v7
	v_fmac_f32_e32 v11, v0, v6
	v_fma_f32 v6, v6, v1, -v7
	v_cvt_f64_f32_e32 v[0:1], v11
	v_cvt_f64_f32_e32 v[6:7], v6
	v_mul_f64 v[0:1], v[0:1], s[4:5]
	v_mul_f64 v[6:7], v[6:7], s[4:5]
	v_cvt_f32_f64_e32 v0, v[0:1]
	v_cvt_f32_f64_e32 v1, v[6:7]
	global_store_dwordx2 v[4:5], v[0:1], off
	global_load_dwordx2 v[0:1], v[184:185], off offset:96
	v_add_co_u32 v4, vcc_lo, v4, s2
	v_add_co_ci_u32_e32 v5, vcc_lo, s3, v5, vcc_lo
	s_waitcnt vmcnt(0)
	v_mul_f32_e32 v6, v3, v1
	v_mul_f32_e32 v1, v2, v1
	v_fmac_f32_e32 v6, v2, v0
	v_fma_f32 v2, v0, v3, -v1
	v_cvt_f64_f32_e32 v[0:1], v6
	v_cvt_f64_f32_e32 v[2:3], v2
	v_mul_f64 v[0:1], v[0:1], s[4:5]
	v_mul_f64 v[2:3], v[2:3], s[4:5]
	v_cvt_f32_f64_e32 v0, v[0:1]
	v_cvt_f32_f64_e32 v1, v[2:3]
	global_store_dwordx2 v[4:5], v[0:1], off
	global_load_dwordx2 v[6:7], v[184:185], off offset:744
	ds_read2_b64 v[0:3], v10 offset0:93 offset1:174
	v_add_co_u32 v4, vcc_lo, v4, s2
	v_add_co_ci_u32_e32 v5, vcc_lo, s3, v5, vcc_lo
	s_waitcnt vmcnt(0) lgkmcnt(0)
	v_mul_f32_e32 v10, v1, v7
	v_mul_f32_e32 v7, v0, v7
	v_fmac_f32_e32 v10, v0, v6
	v_fma_f32 v6, v6, v1, -v7
	v_cvt_f64_f32_e32 v[0:1], v10
	v_cvt_f64_f32_e32 v[6:7], v6
	v_mul_f64 v[0:1], v[0:1], s[4:5]
	v_mul_f64 v[6:7], v[6:7], s[4:5]
	v_cvt_f32_f64_e32 v0, v[0:1]
	v_cvt_f32_f64_e32 v1, v[6:7]
	global_store_dwordx2 v[4:5], v[0:1], off
	global_load_dwordx2 v[0:1], v[184:185], off offset:1392
	v_add_co_u32 v4, vcc_lo, v4, s2
	v_add_co_ci_u32_e32 v5, vcc_lo, s3, v5, vcc_lo
	s_waitcnt vmcnt(0)
	v_mul_f32_e32 v6, v3, v1
	v_mul_f32_e32 v1, v2, v1
	v_fmac_f32_e32 v6, v2, v0
	v_fma_f32 v2, v0, v3, -v1
	v_cvt_f64_f32_e32 v[0:1], v6
	v_cvt_f64_f32_e32 v[2:3], v2
	v_mul_f64 v[0:1], v[0:1], s[4:5]
	v_mul_f64 v[2:3], v[2:3], s[4:5]
	v_cvt_f32_f64_e32 v0, v[0:1]
	v_cvt_f32_f64_e32 v1, v[2:3]
	global_store_dwordx2 v[4:5], v[0:1], off
	global_load_dwordx2 v[6:7], v[184:185], off offset:2040
	ds_read2_b64 v[0:3], v9 offset0:127 offset1:208
	v_add_co_u32 v4, vcc_lo, v4, s2
	v_add_co_ci_u32_e32 v5, vcc_lo, s3, v5, vcc_lo
	;; [unrolled: 31-line block ×3, first 2 shown]
	s_waitcnt vmcnt(0) lgkmcnt(0)
	v_mul_f32_e32 v8, v1, v7
	v_mul_f32_e32 v7, v0, v7
	v_fmac_f32_e32 v8, v0, v6
	v_fma_f32 v6, v6, v1, -v7
	v_cvt_f64_f32_e32 v[0:1], v8
	v_cvt_f64_f32_e32 v[6:7], v6
	v_mul_f64 v[0:1], v[0:1], s[4:5]
	v_mul_f64 v[6:7], v[6:7], s[4:5]
	v_cvt_f32_f64_e32 v0, v[0:1]
	v_cvt_f32_f64_e32 v1, v[6:7]
	global_store_dwordx2 v[4:5], v[0:1], off
	global_load_dwordx2 v[0:1], v[178:179], off offset:1936
	s_waitcnt vmcnt(0)
	v_mul_f32_e32 v6, v3, v1
	v_mul_f32_e32 v1, v2, v1
	v_fmac_f32_e32 v6, v2, v0
	v_fma_f32 v2, v0, v3, -v1
	v_cvt_f64_f32_e32 v[0:1], v6
	v_cvt_f64_f32_e32 v[2:3], v2
	v_mul_f64 v[0:1], v[0:1], s[4:5]
	v_mul_f64 v[2:3], v[2:3], s[4:5]
	v_cvt_f32_f64_e32 v0, v[0:1]
	v_cvt_f32_f64_e32 v1, v[2:3]
	v_add_co_u32 v2, vcc_lo, v4, s2
	v_add_co_ci_u32_e32 v3, vcc_lo, s3, v5, vcc_lo
	ds_read_b64 v[4:5], v223 offset:10776
	global_store_dwordx2 v[2:3], v[0:1], off
	global_load_dwordx2 v[0:1], v[182:183], off offset:536
	v_add_co_u32 v2, vcc_lo, v2, s2
	v_add_co_ci_u32_e32 v3, vcc_lo, s3, v3, vcc_lo
	s_waitcnt vmcnt(0) lgkmcnt(0)
	v_mul_f32_e32 v6, v5, v1
	v_mul_f32_e32 v1, v4, v1
	v_fmac_f32_e32 v6, v4, v0
	v_fma_f32 v4, v0, v5, -v1
	v_cvt_f64_f32_e32 v[0:1], v6
	v_cvt_f64_f32_e32 v[4:5], v4
	v_mul_f64 v[0:1], v[0:1], s[4:5]
	v_mul_f64 v[4:5], v[4:5], s[4:5]
	v_cvt_f32_f64_e32 v0, v[0:1]
	v_cvt_f32_f64_e32 v1, v[4:5]
	global_store_dwordx2 v[2:3], v[0:1], off
.LBB0_15:
	s_endpgm
	.section	.rodata,"a",@progbits
	.p2align	6, 0x0
	.amdhsa_kernel bluestein_single_fwd_len1377_dim1_sp_op_CI_CI
		.amdhsa_group_segment_fixed_size 11016
		.amdhsa_private_segment_fixed_size 312
		.amdhsa_kernarg_size 104
		.amdhsa_user_sgpr_count 6
		.amdhsa_user_sgpr_private_segment_buffer 1
		.amdhsa_user_sgpr_dispatch_ptr 0
		.amdhsa_user_sgpr_queue_ptr 0
		.amdhsa_user_sgpr_kernarg_segment_ptr 1
		.amdhsa_user_sgpr_dispatch_id 0
		.amdhsa_user_sgpr_flat_scratch_init 0
		.amdhsa_user_sgpr_private_segment_size 0
		.amdhsa_wavefront_size32 1
		.amdhsa_uses_dynamic_stack 0
		.amdhsa_system_sgpr_private_segment_wavefront_offset 1
		.amdhsa_system_sgpr_workgroup_id_x 1
		.amdhsa_system_sgpr_workgroup_id_y 0
		.amdhsa_system_sgpr_workgroup_id_z 0
		.amdhsa_system_sgpr_workgroup_info 0
		.amdhsa_system_vgpr_workitem_id 0
		.amdhsa_next_free_vgpr 256
		.amdhsa_next_free_sgpr 20
		.amdhsa_reserve_vcc 1
		.amdhsa_reserve_flat_scratch 0
		.amdhsa_float_round_mode_32 0
		.amdhsa_float_round_mode_16_64 0
		.amdhsa_float_denorm_mode_32 3
		.amdhsa_float_denorm_mode_16_64 3
		.amdhsa_dx10_clamp 1
		.amdhsa_ieee_mode 1
		.amdhsa_fp16_overflow 0
		.amdhsa_workgroup_processor_mode 1
		.amdhsa_memory_ordered 1
		.amdhsa_forward_progress 0
		.amdhsa_shared_vgpr_count 0
		.amdhsa_exception_fp_ieee_invalid_op 0
		.amdhsa_exception_fp_denorm_src 0
		.amdhsa_exception_fp_ieee_div_zero 0
		.amdhsa_exception_fp_ieee_overflow 0
		.amdhsa_exception_fp_ieee_underflow 0
		.amdhsa_exception_fp_ieee_inexact 0
		.amdhsa_exception_int_div_zero 0
	.end_amdhsa_kernel
	.text
.Lfunc_end0:
	.size	bluestein_single_fwd_len1377_dim1_sp_op_CI_CI, .Lfunc_end0-bluestein_single_fwd_len1377_dim1_sp_op_CI_CI
                                        ; -- End function
	.section	.AMDGPU.csdata,"",@progbits
; Kernel info:
; codeLenInByte = 41460
; NumSgprs: 22
; NumVgprs: 256
; ScratchSize: 312
; MemoryBound: 0
; FloatMode: 240
; IeeeMode: 1
; LDSByteSize: 11016 bytes/workgroup (compile time only)
; SGPRBlocks: 2
; VGPRBlocks: 31
; NumSGPRsForWavesPerEU: 22
; NumVGPRsForWavesPerEU: 256
; Occupancy: 4
; WaveLimiterHint : 1
; COMPUTE_PGM_RSRC2:SCRATCH_EN: 1
; COMPUTE_PGM_RSRC2:USER_SGPR: 6
; COMPUTE_PGM_RSRC2:TRAP_HANDLER: 0
; COMPUTE_PGM_RSRC2:TGID_X_EN: 1
; COMPUTE_PGM_RSRC2:TGID_Y_EN: 0
; COMPUTE_PGM_RSRC2:TGID_Z_EN: 0
; COMPUTE_PGM_RSRC2:TIDIG_COMP_CNT: 0
	.text
	.p2alignl 6, 3214868480
	.fill 48, 4, 3214868480
	.type	__hip_cuid_5c1f575ae87b9d77,@object ; @__hip_cuid_5c1f575ae87b9d77
	.section	.bss,"aw",@nobits
	.globl	__hip_cuid_5c1f575ae87b9d77
__hip_cuid_5c1f575ae87b9d77:
	.byte	0                               ; 0x0
	.size	__hip_cuid_5c1f575ae87b9d77, 1

	.ident	"AMD clang version 19.0.0git (https://github.com/RadeonOpenCompute/llvm-project roc-6.4.0 25133 c7fe45cf4b819c5991fe208aaa96edf142730f1d)"
	.section	".note.GNU-stack","",@progbits
	.addrsig
	.addrsig_sym __hip_cuid_5c1f575ae87b9d77
	.amdgpu_metadata
---
amdhsa.kernels:
  - .args:
      - .actual_access:  read_only
        .address_space:  global
        .offset:         0
        .size:           8
        .value_kind:     global_buffer
      - .actual_access:  read_only
        .address_space:  global
        .offset:         8
        .size:           8
        .value_kind:     global_buffer
      - .actual_access:  read_only
        .address_space:  global
        .offset:         16
        .size:           8
        .value_kind:     global_buffer
      - .actual_access:  read_only
        .address_space:  global
        .offset:         24
        .size:           8
        .value_kind:     global_buffer
      - .actual_access:  read_only
        .address_space:  global
        .offset:         32
        .size:           8
        .value_kind:     global_buffer
      - .offset:         40
        .size:           8
        .value_kind:     by_value
      - .address_space:  global
        .offset:         48
        .size:           8
        .value_kind:     global_buffer
      - .address_space:  global
        .offset:         56
        .size:           8
        .value_kind:     global_buffer
      - .address_space:  global
        .offset:         64
        .size:           8
        .value_kind:     global_buffer
      - .address_space:  global
        .offset:         72
        .size:           8
        .value_kind:     global_buffer
      - .offset:         80
        .size:           4
        .value_kind:     by_value
      - .address_space:  global
        .offset:         88
        .size:           8
        .value_kind:     global_buffer
      - .address_space:  global
        .offset:         96
        .size:           8
        .value_kind:     global_buffer
    .group_segment_fixed_size: 11016
    .kernarg_segment_align: 8
    .kernarg_segment_size: 104
    .language:       OpenCL C
    .language_version:
      - 2
      - 0
    .max_flat_workgroup_size: 51
    .name:           bluestein_single_fwd_len1377_dim1_sp_op_CI_CI
    .private_segment_fixed_size: 312
    .sgpr_count:     22
    .sgpr_spill_count: 0
    .symbol:         bluestein_single_fwd_len1377_dim1_sp_op_CI_CI.kd
    .uniform_work_group_size: 1
    .uses_dynamic_stack: false
    .vgpr_count:     256
    .vgpr_spill_count: 77
    .wavefront_size: 32
    .workgroup_processor_mode: 1
amdhsa.target:   amdgcn-amd-amdhsa--gfx1030
amdhsa.version:
  - 1
  - 2
...

	.end_amdgpu_metadata
